;; amdgpu-corpus repo=ROCm/rocFFT kind=compiled arch=gfx1201 opt=O3
	.text
	.amdgcn_target "amdgcn-amd-amdhsa--gfx1201"
	.amdhsa_code_object_version 6
	.protected	fft_rtc_back_len1155_factors_11_5_7_3_wgs_55_tpt_55_halfLds_dp_op_CI_CI_sbrr_dirReg ; -- Begin function fft_rtc_back_len1155_factors_11_5_7_3_wgs_55_tpt_55_halfLds_dp_op_CI_CI_sbrr_dirReg
	.globl	fft_rtc_back_len1155_factors_11_5_7_3_wgs_55_tpt_55_halfLds_dp_op_CI_CI_sbrr_dirReg
	.p2align	8
	.type	fft_rtc_back_len1155_factors_11_5_7_3_wgs_55_tpt_55_halfLds_dp_op_CI_CI_sbrr_dirReg,@function
fft_rtc_back_len1155_factors_11_5_7_3_wgs_55_tpt_55_halfLds_dp_op_CI_CI_sbrr_dirReg: ; @fft_rtc_back_len1155_factors_11_5_7_3_wgs_55_tpt_55_halfLds_dp_op_CI_CI_sbrr_dirReg
; %bb.0:
	s_clause 0x2
	s_load_b128 s[12:15], s[0:1], 0x18
	s_load_b128 s[8:11], s[0:1], 0x0
	;; [unrolled: 1-line block ×3, first 2 shown]
	v_mul_u32_u24_e32 v1, 0x4a8, v0
	v_mov_b32_e32 v4, 0
	v_mov_b32_e32 v5, 0
	s_wait_kmcnt 0x0
	s_load_b64 s[18:19], s[12:13], 0x0
	s_load_b64 s[16:17], s[14:15], 0x0
	v_lshrrev_b32_e32 v2, 16, v1
	v_mov_b32_e32 v1, 0
	v_cmp_lt_u64_e64 s2, s[10:11], 2
	s_delay_alu instid0(VALU_DEP_2) | instskip(NEXT) | instid1(VALU_DEP_2)
	v_dual_mov_b32 v7, v1 :: v_dual_add_nc_u32 v6, ttmp9, v2
	s_and_b32 vcc_lo, exec_lo, s2
	s_cbranch_vccnz .LBB0_8
; %bb.1:
	s_load_b64 s[2:3], s[0:1], 0x10
	v_mov_b32_e32 v4, 0
	v_mov_b32_e32 v5, 0
	s_add_nc_u64 s[20:21], s[14:15], 8
	s_add_nc_u64 s[22:23], s[12:13], 8
	s_mov_b64 s[24:25], 1
	s_delay_alu instid0(VALU_DEP_1)
	v_dual_mov_b32 v135, v5 :: v_dual_mov_b32 v134, v4
	s_wait_kmcnt 0x0
	s_add_nc_u64 s[26:27], s[2:3], 8
	s_mov_b32 s3, 0
.LBB0_2:                                ; =>This Inner Loop Header: Depth=1
	s_load_b64 s[28:29], s[26:27], 0x0
                                        ; implicit-def: $vgpr136_vgpr137
	s_mov_b32 s2, exec_lo
	s_wait_kmcnt 0x0
	v_or_b32_e32 v2, s29, v7
	s_delay_alu instid0(VALU_DEP_1)
	v_cmpx_ne_u64_e32 0, v[1:2]
	s_wait_alu 0xfffe
	s_xor_b32 s30, exec_lo, s2
	s_cbranch_execz .LBB0_4
; %bb.3:                                ;   in Loop: Header=BB0_2 Depth=1
	s_cvt_f32_u32 s2, s28
	s_cvt_f32_u32 s31, s29
	s_sub_nc_u64 s[36:37], 0, s[28:29]
	s_wait_alu 0xfffe
	s_delay_alu instid0(SALU_CYCLE_1) | instskip(SKIP_1) | instid1(SALU_CYCLE_2)
	s_fmamk_f32 s2, s31, 0x4f800000, s2
	s_wait_alu 0xfffe
	v_s_rcp_f32 s2, s2
	s_delay_alu instid0(TRANS32_DEP_1) | instskip(SKIP_1) | instid1(SALU_CYCLE_2)
	s_mul_f32 s2, s2, 0x5f7ffffc
	s_wait_alu 0xfffe
	s_mul_f32 s31, s2, 0x2f800000
	s_wait_alu 0xfffe
	s_delay_alu instid0(SALU_CYCLE_2) | instskip(SKIP_1) | instid1(SALU_CYCLE_2)
	s_trunc_f32 s31, s31
	s_wait_alu 0xfffe
	s_fmamk_f32 s2, s31, 0xcf800000, s2
	s_cvt_u32_f32 s35, s31
	s_wait_alu 0xfffe
	s_delay_alu instid0(SALU_CYCLE_1) | instskip(SKIP_1) | instid1(SALU_CYCLE_2)
	s_cvt_u32_f32 s34, s2
	s_wait_alu 0xfffe
	s_mul_u64 s[38:39], s[36:37], s[34:35]
	s_wait_alu 0xfffe
	s_mul_hi_u32 s41, s34, s39
	s_mul_i32 s40, s34, s39
	s_mul_hi_u32 s2, s34, s38
	s_mul_i32 s33, s35, s38
	s_wait_alu 0xfffe
	s_add_nc_u64 s[40:41], s[2:3], s[40:41]
	s_mul_hi_u32 s31, s35, s38
	s_mul_hi_u32 s42, s35, s39
	s_add_co_u32 s2, s40, s33
	s_wait_alu 0xfffe
	s_add_co_ci_u32 s2, s41, s31
	s_mul_i32 s38, s35, s39
	s_add_co_ci_u32 s39, s42, 0
	s_wait_alu 0xfffe
	s_add_nc_u64 s[38:39], s[2:3], s[38:39]
	s_wait_alu 0xfffe
	v_add_co_u32 v2, s2, s34, s38
	s_delay_alu instid0(VALU_DEP_1) | instskip(SKIP_1) | instid1(VALU_DEP_1)
	s_cmp_lg_u32 s2, 0
	s_add_co_ci_u32 s35, s35, s39
	v_readfirstlane_b32 s34, v2
	s_wait_alu 0xfffe
	s_delay_alu instid0(VALU_DEP_1)
	s_mul_u64 s[36:37], s[36:37], s[34:35]
	s_wait_alu 0xfffe
	s_mul_hi_u32 s39, s34, s37
	s_mul_i32 s38, s34, s37
	s_mul_hi_u32 s2, s34, s36
	s_mul_i32 s33, s35, s36
	s_wait_alu 0xfffe
	s_add_nc_u64 s[38:39], s[2:3], s[38:39]
	s_mul_hi_u32 s31, s35, s36
	s_mul_hi_u32 s34, s35, s37
	s_wait_alu 0xfffe
	s_add_co_u32 s2, s38, s33
	s_add_co_ci_u32 s2, s39, s31
	s_mul_i32 s36, s35, s37
	s_add_co_ci_u32 s37, s34, 0
	s_wait_alu 0xfffe
	s_add_nc_u64 s[36:37], s[2:3], s[36:37]
	s_wait_alu 0xfffe
	v_add_co_u32 v8, s2, v2, s36
	s_delay_alu instid0(VALU_DEP_1) | instskip(SKIP_1) | instid1(VALU_DEP_1)
	s_cmp_lg_u32 s2, 0
	s_add_co_ci_u32 s2, s35, s37
	v_mul_hi_u32 v12, v6, v8
	s_wait_alu 0xfffe
	v_mad_co_u64_u32 v[2:3], null, v6, s2, 0
	v_mad_co_u64_u32 v[8:9], null, v7, v8, 0
	;; [unrolled: 1-line block ×3, first 2 shown]
	s_delay_alu instid0(VALU_DEP_3) | instskip(SKIP_1) | instid1(VALU_DEP_4)
	v_add_co_u32 v2, vcc_lo, v12, v2
	s_wait_alu 0xfffd
	v_add_co_ci_u32_e32 v3, vcc_lo, 0, v3, vcc_lo
	s_delay_alu instid0(VALU_DEP_2) | instskip(SKIP_1) | instid1(VALU_DEP_2)
	v_add_co_u32 v2, vcc_lo, v2, v8
	s_wait_alu 0xfffd
	v_add_co_ci_u32_e32 v2, vcc_lo, v3, v9, vcc_lo
	s_wait_alu 0xfffd
	v_add_co_ci_u32_e32 v3, vcc_lo, 0, v11, vcc_lo
	s_delay_alu instid0(VALU_DEP_2) | instskip(SKIP_1) | instid1(VALU_DEP_2)
	v_add_co_u32 v8, vcc_lo, v2, v10
	s_wait_alu 0xfffd
	v_add_co_ci_u32_e32 v9, vcc_lo, 0, v3, vcc_lo
	s_delay_alu instid0(VALU_DEP_2) | instskip(SKIP_1) | instid1(VALU_DEP_3)
	v_mul_lo_u32 v10, s29, v8
	v_mad_co_u64_u32 v[2:3], null, s28, v8, 0
	v_mul_lo_u32 v11, s28, v9
	s_delay_alu instid0(VALU_DEP_2) | instskip(NEXT) | instid1(VALU_DEP_2)
	v_sub_co_u32 v2, vcc_lo, v6, v2
	v_add3_u32 v3, v3, v11, v10
	s_delay_alu instid0(VALU_DEP_1) | instskip(SKIP_1) | instid1(VALU_DEP_1)
	v_sub_nc_u32_e32 v10, v7, v3
	s_wait_alu 0xfffd
	v_subrev_co_ci_u32_e64 v10, s2, s29, v10, vcc_lo
	v_add_co_u32 v11, s2, v8, 2
	s_wait_alu 0xf1ff
	v_add_co_ci_u32_e64 v12, s2, 0, v9, s2
	v_sub_co_u32 v13, s2, v2, s28
	v_sub_co_ci_u32_e32 v3, vcc_lo, v7, v3, vcc_lo
	s_wait_alu 0xf1ff
	v_subrev_co_ci_u32_e64 v10, s2, 0, v10, s2
	s_delay_alu instid0(VALU_DEP_3) | instskip(NEXT) | instid1(VALU_DEP_3)
	v_cmp_le_u32_e32 vcc_lo, s28, v13
	v_cmp_eq_u32_e64 s2, s29, v3
	s_wait_alu 0xfffd
	v_cndmask_b32_e64 v13, 0, -1, vcc_lo
	v_cmp_le_u32_e32 vcc_lo, s29, v10
	s_wait_alu 0xfffd
	v_cndmask_b32_e64 v14, 0, -1, vcc_lo
	v_cmp_le_u32_e32 vcc_lo, s28, v2
	;; [unrolled: 3-line block ×3, first 2 shown]
	s_wait_alu 0xfffd
	v_cndmask_b32_e64 v15, 0, -1, vcc_lo
	v_cmp_eq_u32_e32 vcc_lo, s29, v10
	s_wait_alu 0xf1ff
	s_delay_alu instid0(VALU_DEP_2)
	v_cndmask_b32_e64 v2, v15, v2, s2
	s_wait_alu 0xfffd
	v_cndmask_b32_e32 v10, v14, v13, vcc_lo
	v_add_co_u32 v13, vcc_lo, v8, 1
	s_wait_alu 0xfffd
	v_add_co_ci_u32_e32 v14, vcc_lo, 0, v9, vcc_lo
	s_delay_alu instid0(VALU_DEP_3) | instskip(SKIP_1) | instid1(VALU_DEP_2)
	v_cmp_ne_u32_e32 vcc_lo, 0, v10
	s_wait_alu 0xfffd
	v_dual_cndmask_b32 v3, v14, v12 :: v_dual_cndmask_b32 v10, v13, v11
	v_cmp_ne_u32_e32 vcc_lo, 0, v2
	s_wait_alu 0xfffd
	s_delay_alu instid0(VALU_DEP_2)
	v_dual_cndmask_b32 v137, v9, v3 :: v_dual_cndmask_b32 v136, v8, v10
.LBB0_4:                                ;   in Loop: Header=BB0_2 Depth=1
	s_wait_alu 0xfffe
	s_and_not1_saveexec_b32 s2, s30
	s_cbranch_execz .LBB0_6
; %bb.5:                                ;   in Loop: Header=BB0_2 Depth=1
	v_cvt_f32_u32_e32 v2, s28
	s_sub_co_i32 s30, 0, s28
	v_mov_b32_e32 v137, v1
	s_delay_alu instid0(VALU_DEP_2) | instskip(NEXT) | instid1(TRANS32_DEP_1)
	v_rcp_iflag_f32_e32 v2, v2
	v_mul_f32_e32 v2, 0x4f7ffffe, v2
	s_delay_alu instid0(VALU_DEP_1) | instskip(SKIP_1) | instid1(VALU_DEP_1)
	v_cvt_u32_f32_e32 v2, v2
	s_wait_alu 0xfffe
	v_mul_lo_u32 v3, s30, v2
	s_delay_alu instid0(VALU_DEP_1) | instskip(NEXT) | instid1(VALU_DEP_1)
	v_mul_hi_u32 v3, v2, v3
	v_add_nc_u32_e32 v2, v2, v3
	s_delay_alu instid0(VALU_DEP_1) | instskip(NEXT) | instid1(VALU_DEP_1)
	v_mul_hi_u32 v2, v6, v2
	v_mul_lo_u32 v3, v2, s28
	v_add_nc_u32_e32 v8, 1, v2
	s_delay_alu instid0(VALU_DEP_2) | instskip(NEXT) | instid1(VALU_DEP_1)
	v_sub_nc_u32_e32 v3, v6, v3
	v_subrev_nc_u32_e32 v9, s28, v3
	v_cmp_le_u32_e32 vcc_lo, s28, v3
	s_wait_alu 0xfffd
	s_delay_alu instid0(VALU_DEP_2) | instskip(NEXT) | instid1(VALU_DEP_1)
	v_dual_cndmask_b32 v3, v3, v9 :: v_dual_cndmask_b32 v2, v2, v8
	v_cmp_le_u32_e32 vcc_lo, s28, v3
	s_delay_alu instid0(VALU_DEP_2) | instskip(SKIP_1) | instid1(VALU_DEP_1)
	v_add_nc_u32_e32 v8, 1, v2
	s_wait_alu 0xfffd
	v_cndmask_b32_e32 v136, v2, v8, vcc_lo
.LBB0_6:                                ;   in Loop: Header=BB0_2 Depth=1
	s_wait_alu 0xfffe
	s_or_b32 exec_lo, exec_lo, s2
	v_mul_lo_u32 v8, v137, s28
	s_delay_alu instid0(VALU_DEP_2)
	v_mul_lo_u32 v9, v136, s29
	s_load_b64 s[30:31], s[22:23], 0x0
	v_mad_co_u64_u32 v[2:3], null, v136, s28, 0
	s_load_b64 s[28:29], s[20:21], 0x0
	s_add_nc_u64 s[24:25], s[24:25], 1
	s_add_nc_u64 s[20:21], s[20:21], 8
	s_wait_alu 0xfffe
	v_cmp_ge_u64_e64 s2, s[24:25], s[10:11]
	s_add_nc_u64 s[22:23], s[22:23], 8
	s_add_nc_u64 s[26:27], s[26:27], 8
	v_add3_u32 v3, v3, v9, v8
	v_sub_co_u32 v2, vcc_lo, v6, v2
	s_wait_alu 0xfffd
	s_delay_alu instid0(VALU_DEP_2) | instskip(SKIP_2) | instid1(VALU_DEP_1)
	v_sub_co_ci_u32_e32 v3, vcc_lo, v7, v3, vcc_lo
	s_and_b32 vcc_lo, exec_lo, s2
	s_wait_kmcnt 0x0
	v_mul_lo_u32 v6, s30, v3
	v_mul_lo_u32 v7, s31, v2
	v_mad_co_u64_u32 v[4:5], null, s30, v2, v[4:5]
	v_mul_lo_u32 v3, s28, v3
	v_mul_lo_u32 v8, s29, v2
	v_mad_co_u64_u32 v[134:135], null, s28, v2, v[134:135]
	s_delay_alu instid0(VALU_DEP_4) | instskip(NEXT) | instid1(VALU_DEP_2)
	v_add3_u32 v5, v7, v5, v6
	v_add3_u32 v135, v8, v135, v3
	s_wait_alu 0xfffe
	s_cbranch_vccnz .LBB0_9
; %bb.7:                                ;   in Loop: Header=BB0_2 Depth=1
	v_dual_mov_b32 v6, v136 :: v_dual_mov_b32 v7, v137
	s_branch .LBB0_2
.LBB0_8:
	v_dual_mov_b32 v135, v5 :: v_dual_mov_b32 v134, v4
	s_delay_alu instid0(VALU_DEP_2)
	v_dual_mov_b32 v137, v7 :: v_dual_mov_b32 v136, v6
.LBB0_9:
	s_load_b64 s[0:1], s[0:1], 0x28
	v_mul_hi_u32 v1, 0x4a7904b, v0
	s_lshl_b64 s[10:11], s[10:11], 3
                                        ; implicit-def: $vgpr140
	s_wait_alu 0xfffe
	s_add_nc_u64 s[2:3], s[14:15], s[10:11]
	s_wait_kmcnt 0x0
	v_cmp_gt_u64_e32 vcc_lo, s[0:1], v[136:137]
	v_cmp_le_u64_e64 s0, s[0:1], v[136:137]
	s_delay_alu instid0(VALU_DEP_1)
	s_and_saveexec_b32 s1, s0
	s_wait_alu 0xfffe
	s_xor_b32 s0, exec_lo, s1
; %bb.10:
	v_mul_u32_u24_e32 v1, 55, v1
                                        ; implicit-def: $vgpr4_vgpr5
	s_delay_alu instid0(VALU_DEP_1)
	v_sub_nc_u32_e32 v140, v0, v1
                                        ; implicit-def: $vgpr1
                                        ; implicit-def: $vgpr0
; %bb.11:
	s_wait_alu 0xfffe
	s_or_saveexec_b32 s1, s0
	s_load_b64 s[2:3], s[2:3], 0x0
                                        ; implicit-def: $vgpr28_vgpr29
                                        ; implicit-def: $vgpr32_vgpr33
                                        ; implicit-def: $vgpr48_vgpr49
                                        ; implicit-def: $vgpr76_vgpr77
                                        ; implicit-def: $vgpr80_vgpr81
                                        ; implicit-def: $vgpr84_vgpr85
                                        ; implicit-def: $vgpr88_vgpr89
                                        ; implicit-def: $vgpr72_vgpr73
                                        ; implicit-def: $vgpr68_vgpr69
                                        ; implicit-def: $vgpr52_vgpr53
                                        ; implicit-def: $vgpr2_vgpr3
                                        ; implicit-def: $vgpr12_vgpr13
                                        ; implicit-def: $vgpr16_vgpr17
                                        ; implicit-def: $vgpr20_vgpr21
                                        ; implicit-def: $vgpr44_vgpr45
                                        ; implicit-def: $vgpr36_vgpr37
                                        ; implicit-def: $vgpr24_vgpr25
                                        ; implicit-def: $vgpr56_vgpr57
                                        ; implicit-def: $vgpr40_vgpr41
                                        ; implicit-def: $vgpr60_vgpr61
                                        ; implicit-def: $vgpr64_vgpr65
                                        ; implicit-def: $vgpr8_vgpr9
	s_xor_b32 exec_lo, exec_lo, s1
	s_cbranch_execz .LBB0_15
; %bb.12:
	s_add_nc_u64 s[10:11], s[12:13], s[10:11]
	v_mul_u32_u24_e32 v1, 55, v1
	s_load_b64 s[10:11], s[10:11], 0x0
	v_lshlrev_b64_e32 v[4:5], 4, v[4:5]
                                        ; implicit-def: $vgpr50_vgpr51
                                        ; implicit-def: $vgpr66_vgpr67
                                        ; implicit-def: $vgpr70_vgpr71
                                        ; implicit-def: $vgpr86_vgpr87
                                        ; implicit-def: $vgpr82_vgpr83
                                        ; implicit-def: $vgpr78_vgpr79
                                        ; implicit-def: $vgpr74_vgpr75
                                        ; implicit-def: $vgpr46_vgpr47
                                        ; implicit-def: $vgpr30_vgpr31
	s_delay_alu instid0(VALU_DEP_2) | instskip(NEXT) | instid1(VALU_DEP_1)
	v_sub_nc_u32_e32 v140, v0, v1
	v_add_nc_u32_e32 v18, 0xd2, v140
	v_mad_co_u64_u32 v[0:1], null, s18, v140, 0
	v_add_nc_u32_e32 v19, 0x13b, v140
	v_add_nc_u32_e32 v29, 0x41a, v140
	s_delay_alu instid0(VALU_DEP_4) | instskip(SKIP_1) | instid1(VALU_DEP_4)
	v_mad_co_u64_u32 v[10:11], null, s18, v18, 0
	v_add_nc_u32_e32 v16, 0x69, v140
	v_mad_co_u64_u32 v[12:13], null, s18, v19, 0
	s_delay_alu instid0(VALU_DEP_4)
	v_mad_co_u64_u32 v[26:27], null, s18, v29, 0
	s_wait_kmcnt 0x0
	v_mul_lo_u32 v17, s11, v136
	v_mul_lo_u32 v21, s10, v137
	v_mad_co_u64_u32 v[6:7], null, s10, v136, 0
	v_mad_co_u64_u32 v[2:3], null, s18, v16, 0
	v_add_nc_u32_e32 v22, 0x348, v140
	v_add_nc_u32_e32 v28, 0x3b1, v140
	s_delay_alu instid0(VALU_DEP_4) | instskip(SKIP_3) | instid1(VALU_DEP_4)
	v_add3_u32 v7, v7, v21, v17
	v_add_nc_u32_e32 v21, 0x20d, v140
	v_mad_co_u64_u32 v[8:9], null, s19, v140, v[1:2]
	v_mov_b32_e32 v9, v11
	v_lshlrev_b64_e32 v[6:7], 4, v[6:7]
	v_mad_co_u64_u32 v[16:17], null, s19, v16, v[3:4]
	s_delay_alu instid0(VALU_DEP_4) | instskip(NEXT) | instid1(VALU_DEP_3)
	v_dual_mov_b32 v1, v8 :: v_dual_add_nc_u32 v20, 0x1a4, v140
	v_add_co_u32 v6, s0, s4, v6
	s_wait_alu 0xf1ff
	s_delay_alu instid0(VALU_DEP_4) | instskip(NEXT) | instid1(VALU_DEP_4)
	v_add_co_ci_u32_e64 v7, s0, s5, v7, s0
	v_mov_b32_e32 v3, v16
	v_lshlrev_b64_e32 v[0:1], 4, v[0:1]
	v_mad_co_u64_u32 v[14:15], null, s18, v20, 0
	v_add_co_u32 v4, s0, v6, v4
	s_wait_alu 0xf1ff
	v_add_co_ci_u32_e64 v5, s0, v7, v5, s0
	v_lshlrev_b64_e32 v[2:3], 4, v[2:3]
	v_mad_co_u64_u32 v[8:9], null, s19, v18, v[9:10]
	v_add_co_u32 v0, s0, v4, v0
	s_wait_alu 0xf1ff
	v_add_co_ci_u32_e64 v1, s0, v5, v1, s0
	s_delay_alu instid0(VALU_DEP_4)
	v_add_co_u32 v2, s0, v4, v2
	v_mad_co_u64_u32 v[16:17], null, s19, v19, v[13:14]
	v_mov_b32_e32 v13, v15
	s_wait_alu 0xf1ff
	v_add_co_ci_u32_e64 v3, s0, v5, v3, s0
	v_mov_b32_e32 v11, v8
	s_clause 0x1
	global_load_b128 v[6:9], v[0:1], off
	global_load_b128 v[62:65], v[2:3], off
	v_mad_co_u64_u32 v[2:3], null, s19, v20, v[13:14]
	v_dual_mov_b32 v13, v16 :: v_dual_add_nc_u32 v20, 0x2df, v140
	v_lshlrev_b64_e32 v[0:1], 4, v[10:11]
	v_mad_co_u64_u32 v[17:18], null, s18, v21, 0
	s_mov_b32 s4, exec_lo
	s_delay_alu instid0(VALU_DEP_3) | instskip(SKIP_1) | instid1(VALU_DEP_4)
	v_lshlrev_b64_e32 v[10:11], 4, v[12:13]
	v_mov_b32_e32 v15, v2
	v_add_co_u32 v0, s0, v4, v0
	s_wait_alu 0xf1ff
	v_add_co_ci_u32_e64 v1, s0, v5, v1, s0
	s_delay_alu instid0(VALU_DEP_4)
	v_add_co_u32 v10, s0, v4, v10
	v_lshlrev_b64_e32 v[12:13], 4, v[14:15]
	s_wait_alu 0xf1ff
	v_add_co_ci_u32_e64 v11, s0, v5, v11, s0
	s_clause 0x1
	global_load_b128 v[58:61], v[0:1], off
	global_load_b128 v[38:41], v[10:11], off
	v_add_co_u32 v0, s0, v4, v12
	s_wait_alu 0xf1ff
	v_add_co_ci_u32_e64 v1, s0, v5, v13, s0
	v_mad_co_u64_u32 v[12:13], null, s18, v20, 0
	v_mov_b32_e32 v3, v18
	s_delay_alu instid0(VALU_DEP_1) | instskip(SKIP_1) | instid1(VALU_DEP_1)
	v_mad_co_u64_u32 v[2:3], null, s19, v21, v[3:4]
	v_add_nc_u32_e32 v3, 0x276, v140
	v_mad_co_u64_u32 v[14:15], null, s18, v3, 0
	s_delay_alu instid0(VALU_DEP_3) | instskip(NEXT) | instid1(VALU_DEP_1)
	v_mov_b32_e32 v18, v2
	v_lshlrev_b64_e32 v[10:11], 4, v[17:18]
	s_delay_alu instid0(VALU_DEP_3) | instskip(SKIP_2) | instid1(VALU_DEP_3)
	v_mov_b32_e32 v2, v15
	v_mad_co_u64_u32 v[16:17], null, s18, v22, 0
	v_mad_co_u64_u32 v[18:19], null, s18, v28, 0
	;; [unrolled: 1-line block ×3, first 2 shown]
	v_add_co_u32 v10, s0, v4, v10
	s_delay_alu instid0(VALU_DEP_4) | instskip(SKIP_2) | instid1(VALU_DEP_4)
	v_mov_b32_e32 v3, v17
	s_wait_alu 0xf1ff
	v_add_co_ci_u32_e64 v11, s0, v5, v11, s0
	v_dual_mov_b32 v15, v2 :: v_dual_mov_b32 v2, v13
	s_delay_alu instid0(VALU_DEP_1)
	v_mad_co_u64_u32 v[20:21], null, s19, v20, v[2:3]
	v_mad_co_u64_u32 v[2:3], null, s19, v22, v[3:4]
	s_clause 0x1
	global_load_b128 v[54:57], v[0:1], off
	global_load_b128 v[22:25], v[10:11], off
	v_mov_b32_e32 v0, v19
	v_lshlrev_b64_e32 v[10:11], 4, v[14:15]
	v_mov_b32_e32 v13, v20
	s_delay_alu instid0(VALU_DEP_3)
	v_mad_co_u64_u32 v[0:1], null, s19, v28, v[0:1]
	v_mov_b32_e32 v17, v2
	v_mov_b32_e32 v1, v27
	v_add_co_u32 v2, s0, v4, v10
	s_wait_alu 0xf1ff
	v_add_co_ci_u32_e64 v3, s0, v5, v11, s0
	v_lshlrev_b64_e32 v[10:11], 4, v[12:13]
	s_delay_alu instid0(VALU_DEP_3) | instskip(SKIP_2) | instid1(VALU_DEP_4)
	v_mad_co_u64_u32 v[12:13], null, s19, v29, v[1:2]
	v_lshlrev_b64_e32 v[13:14], 4, v[16:17]
	v_mov_b32_e32 v19, v0
	v_add_co_u32 v0, s0, v4, v10
	s_wait_alu 0xf1ff
	v_add_co_ci_u32_e64 v1, s0, v5, v11, s0
	v_mov_b32_e32 v27, v12
	v_lshlrev_b64_e32 v[10:11], 4, v[18:19]
	v_add_co_u32 v12, s0, v4, v13
	s_wait_alu 0xf1ff
	v_add_co_ci_u32_e64 v13, s0, v5, v14, s0
	v_lshlrev_b64_e32 v[14:15], 4, v[26:27]
	s_delay_alu instid0(VALU_DEP_4) | instskip(SKIP_2) | instid1(VALU_DEP_3)
	v_add_co_u32 v10, s0, v4, v10
	s_wait_alu 0xf1ff
	v_add_co_ci_u32_e64 v11, s0, v5, v11, s0
	v_add_co_u32 v26, s0, v4, v14
	s_wait_alu 0xf1ff
	v_add_co_ci_u32_e64 v27, s0, v5, v15, s0
	s_clause 0x4
	global_load_b128 v[34:37], v[2:3], off
	global_load_b128 v[42:45], v[0:1], off
	;; [unrolled: 1-line block ×5, first 2 shown]
                                        ; implicit-def: $vgpr0_vgpr1
                                        ; implicit-def: $vgpr26_vgpr27
	v_cmpx_gt_u32_e32 50, v140
	s_cbranch_execz .LBB0_14
; %bb.13:
	v_add_nc_u32_e32 v29, 0xa0, v140
	v_add_nc_u32_e32 v80, 0x37f, v140
	s_delay_alu instid0(VALU_DEP_2) | instskip(NEXT) | instid1(VALU_DEP_1)
	v_mad_co_u64_u32 v[2:3], null, s18, v29, 0
	v_mad_co_u64_u32 v[29:30], null, s19, v29, v[3:4]
	s_delay_alu instid0(VALU_DEP_1) | instskip(NEXT) | instid1(VALU_DEP_1)
	v_dual_mov_b32 v3, v29 :: v_dual_add_nc_u32 v26, 55, v140
	v_mad_co_u64_u32 v[0:1], null, s18, v26, 0
	s_delay_alu instid0(VALU_DEP_1) | instskip(SKIP_1) | instid1(VALU_DEP_4)
	v_mad_co_u64_u32 v[26:27], null, s19, v26, v[1:2]
	v_add_nc_u32_e32 v46, 0x109, v140
	v_lshlrev_b64_e32 v[2:3], 4, v[2:3]
	s_delay_alu instid0(VALU_DEP_3) | instskip(NEXT) | instid1(VALU_DEP_3)
	v_mov_b32_e32 v1, v26
	v_mad_co_u64_u32 v[27:28], null, s18, v46, 0
	s_delay_alu instid0(VALU_DEP_2) | instskip(NEXT) | instid1(VALU_DEP_2)
	v_lshlrev_b64_e32 v[0:1], 4, v[0:1]
	v_mov_b32_e32 v26, v28
	s_delay_alu instid0(VALU_DEP_2) | instskip(SKIP_1) | instid1(VALU_DEP_3)
	v_add_co_u32 v0, s0, v4, v0
	s_wait_alu 0xf1ff
	v_add_co_ci_u32_e64 v1, s0, v5, v1, s0
	s_delay_alu instid0(VALU_DEP_3) | instskip(SKIP_4) | instid1(VALU_DEP_4)
	v_mad_co_u64_u32 v[46:47], null, s19, v46, v[26:27]
	v_add_nc_u32_e32 v49, 0x172, v140
	v_add_co_u32 v47, s0, v4, v2
	s_wait_alu 0xf1ff
	v_add_co_ci_u32_e64 v48, s0, v5, v3, s0
	v_mov_b32_e32 v28, v46
	v_mad_co_u64_u32 v[30:31], null, s18, v49, 0
	v_add_nc_u32_e32 v66, 0x1db, v140
	s_delay_alu instid0(VALU_DEP_3) | instskip(NEXT) | instid1(VALU_DEP_3)
	v_lshlrev_b64_e32 v[27:28], 4, v[27:28]
	v_mov_b32_e32 v29, v31
	s_delay_alu instid0(VALU_DEP_3) | instskip(SKIP_1) | instid1(VALU_DEP_3)
	v_mad_co_u64_u32 v[32:33], null, s18, v66, 0
	v_add_nc_u32_e32 v67, 0x244, v140
	v_mad_co_u64_u32 v[49:50], null, s19, v49, v[29:30]
	s_clause 0x1
	global_load_b128 v[0:3], v[0:1], off
	global_load_b128 v[50:53], v[47:48], off
	v_mov_b32_e32 v26, v33
	v_mad_co_u64_u32 v[74:75], null, s18, v67, 0
	v_mov_b32_e32 v31, v49
	s_delay_alu instid0(VALU_DEP_3) | instskip(SKIP_1) | instid1(VALU_DEP_4)
	v_mad_co_u64_u32 v[46:47], null, s19, v66, v[26:27]
	v_add_co_u32 v27, s0, v4, v27
	v_dual_mov_b32 v26, v75 :: v_dual_add_nc_u32 v49, 0x2ad, v140
	s_delay_alu instid0(VALU_DEP_4)
	v_lshlrev_b64_e32 v[29:30], 4, v[30:31]
	s_wait_alu 0xf1ff
	v_add_co_ci_u32_e64 v28, s0, v5, v28, s0
	v_mov_b32_e32 v33, v46
	v_mad_co_u64_u32 v[46:47], null, s19, v67, v[26:27]
	v_mad_co_u64_u32 v[47:48], null, s18, v49, 0
	v_add_co_u32 v29, s0, v4, v29
	s_wait_alu 0xf1ff
	v_add_co_ci_u32_e64 v30, s0, v5, v30, s0
	s_delay_alu instid0(VALU_DEP_4)
	v_dual_mov_b32 v75, v46 :: v_dual_add_nc_u32 v46, 0x316, v140
	s_clause 0x1
	global_load_b128 v[66:69], v[27:28], off
	global_load_b128 v[70:73], v[29:30], off
	v_mov_b32_e32 v28, v48
	v_lshlrev_b64_e32 v[31:32], 4, v[32:33]
	v_lshlrev_b64_e32 v[29:30], 4, v[74:75]
	v_mad_co_u64_u32 v[74:75], null, s18, v80, 0
	s_delay_alu instid0(VALU_DEP_3) | instskip(SKIP_1) | instid1(VALU_DEP_4)
	v_add_co_u32 v26, s0, v4, v31
	s_wait_alu 0xf1ff
	v_add_co_ci_u32_e64 v27, s0, v5, v32, s0
	s_delay_alu instid0(VALU_DEP_4)
	v_mad_co_u64_u32 v[31:32], null, s19, v49, v[28:29]
	v_mad_co_u64_u32 v[32:33], null, s18, v46, 0
	v_add_nc_u32_e32 v49, 0x3e8, v140
	v_add_co_u32 v28, s0, v4, v29
	s_wait_alu 0xf1ff
	v_add_co_ci_u32_e64 v29, s0, v5, v30, s0
	v_mov_b32_e32 v48, v31
	v_mov_b32_e32 v30, v33
	v_mad_co_u64_u32 v[76:77], null, s18, v49, 0
	v_mov_b32_e32 v31, v75
	v_add_nc_u32_e32 v81, 0x451, v140
	s_clause 0x1
	global_load_b128 v[86:89], v[26:27], off
	global_load_b128 v[82:85], v[28:29], off
	v_lshlrev_b64_e32 v[27:28], 4, v[47:48]
	v_mad_co_u64_u32 v[78:79], null, s19, v46, v[30:31]
	v_mov_b32_e32 v26, v77
	v_mad_co_u64_u32 v[30:31], null, s19, v80, v[31:32]
	v_mad_co_u64_u32 v[79:80], null, s18, v81, 0
	s_delay_alu instid0(VALU_DEP_4) | instskip(NEXT) | instid1(VALU_DEP_3)
	v_mov_b32_e32 v33, v78
	v_mov_b32_e32 v75, v30
	v_mad_co_u64_u32 v[29:30], null, s19, v49, v[26:27]
	s_delay_alu instid0(VALU_DEP_4) | instskip(SKIP_4) | instid1(VALU_DEP_3)
	v_mov_b32_e32 v26, v80
	v_add_co_u32 v27, s0, v4, v27
	v_lshlrev_b64_e32 v[30:31], 4, v[32:33]
	s_wait_alu 0xf1ff
	v_add_co_ci_u32_e64 v28, s0, v5, v28, s0
	v_mad_co_u64_u32 v[32:33], null, s19, v81, v[26:27]
	v_mov_b32_e32 v77, v29
	s_delay_alu instid0(VALU_DEP_4) | instskip(SKIP_2) | instid1(VALU_DEP_3)
	v_add_co_u32 v29, s0, v4, v30
	s_wait_alu 0xf1ff
	v_add_co_ci_u32_e64 v30, s0, v5, v31, s0
	v_lshlrev_b64_e32 v[48:49], 4, v[76:77]
	v_mov_b32_e32 v80, v32
	v_lshlrev_b64_e32 v[46:47], 4, v[74:75]
	s_delay_alu instid0(VALU_DEP_1) | instskip(SKIP_1) | instid1(VALU_DEP_2)
	v_add_co_u32 v31, s0, v4, v46
	s_wait_alu 0xf1ff
	v_add_co_ci_u32_e64 v32, s0, v5, v47, s0
	v_lshlrev_b64_e32 v[46:47], 4, v[79:80]
	v_add_co_u32 v90, s0, v4, v48
	s_wait_alu 0xf1ff
	v_add_co_ci_u32_e64 v91, s0, v5, v49, s0
	s_delay_alu instid0(VALU_DEP_3)
	v_add_co_u32 v4, s0, v4, v46
	s_wait_alu 0xf1ff
	v_add_co_ci_u32_e64 v5, s0, v5, v47, s0
	s_clause 0x4
	global_load_b128 v[78:81], v[27:28], off
	global_load_b128 v[74:77], v[29:30], off
	;; [unrolled: 1-line block ×5, first 2 shown]
.LBB0_14:
	s_wait_alu 0xfffe
	s_or_b32 exec_lo, exec_lo, s4
.LBB0_15:
	s_delay_alu instid0(SALU_CYCLE_1)
	s_or_b32 exec_lo, exec_lo, s1
	s_wait_loadcnt 0x9
	v_add_f64_e32 v[4:5], v[62:63], v[6:7]
	s_wait_loadcnt 0x0
	v_add_f64_e64 v[92:93], v[64:65], -v[12:13]
	v_add_f64_e64 v[90:91], v[52:53], -v[28:29]
	s_mov_b32 s10, 0x43842ef
	s_mov_b32 s4, 0xbb3a28a1
	;; [unrolled: 1-line block ×10, first 2 shown]
	v_add_f64_e64 v[102:103], v[60:61], -v[16:17]
	v_add_f64_e32 v[106:107], v[10:11], v[62:63]
	v_add_f64_e32 v[100:101], v[26:27], v[50:51]
	s_mov_b32 s22, 0x640f44db
	s_mov_b32 s24, 0x7f775887
	;; [unrolled: 1-line block ×11, first 2 shown]
	s_wait_alu 0xfffe
	s_mov_b32 s20, s10
	s_mov_b32 s26, s14
	;; [unrolled: 1-line block ×5, first 2 shown]
	v_add_f64_e32 v[120:121], v[14:15], v[58:59]
	v_add_f64_e64 v[122:123], v[40:41], -v[20:21]
	v_add_f64_e32 v[112:113], v[30:31], v[66:67]
	v_add_f64_e32 v[159:160], v[18:19], v[38:39]
	v_add_f64_e64 v[161:162], v[56:57], -v[44:45]
	s_mov_b32 s37, 0x3fed1bb4
	v_add_f64_e32 v[4:5], v[58:59], v[4:5]
	v_mul_f64_e32 v[108:109], s[4:5], v[92:93]
	v_mul_f64_e32 v[110:111], s[18:19], v[92:93]
	;; [unrolled: 1-line block ×7, first 2 shown]
	v_add_f64_e64 v[92:93], v[72:73], -v[48:49]
	s_mov_b32 s36, s12
	v_add_f64_e32 v[189:190], v[42:43], v[54:55]
	v_add_f64_e64 v[191:192], v[24:25], -v[36:37]
	v_cmp_gt_u32_e64 s1, 50, v140
	v_mul_f64_e32 v[124:125], s[20:21], v[102:103]
	v_mul_f64_e32 v[126:127], s[26:27], v[102:103]
	;; [unrolled: 1-line block ×4, first 2 shown]
	s_wait_alu 0xfffe
	v_mul_f64_e32 v[132:133], s[34:35], v[102:103]
	v_mul_f64_e32 v[163:164], s[14:15], v[122:123]
	;; [unrolled: 1-line block ×6, first 2 shown]
	v_add_f64_e32 v[94:95], v[38:39], v[4:5]
	v_add_f64_e64 v[4:5], v[68:69], -v[32:33]
	v_fma_f64 v[138:139], v[106:107], s[24:25], v[108:109]
	v_fma_f64 v[141:142], v[106:107], s[24:25], -v[108:109]
	v_fma_f64 v[143:144], v[106:107], s[30:31], v[110:111]
	v_fma_f64 v[145:146], v[106:107], s[30:31], -v[110:111]
	v_fma_f64 v[147:148], v[106:107], s[28:29], v[114:115]
	v_fma_f64 v[149:150], v[106:107], s[38:39], v[116:117]
	;; [unrolled: 1-line block ×3, first 2 shown]
	v_fma_f64 v[116:117], v[106:107], s[38:39], -v[116:117]
	v_fma_f64 v[118:119], v[106:107], s[22:23], -v[118:119]
	;; [unrolled: 1-line block ×5, first 2 shown]
	v_add_f64_e32 v[114:115], v[46:47], v[70:71]
	v_mul_f64_e32 v[108:109], s[10:11], v[92:93]
	v_mul_f64_e32 v[110:111], s[34:35], v[92:93]
	v_fma_f64 v[171:172], v[120:121], s[22:23], v[124:125]
	v_fma_f64 v[173:174], v[120:121], s[28:29], v[126:127]
	;; [unrolled: 1-line block ×3, first 2 shown]
	v_fma_f64 v[128:129], v[120:121], s[38:39], -v[128:129]
	v_fma_f64 v[124:125], v[120:121], s[22:23], -v[124:125]
	v_fma_f64 v[126:127], v[120:121], s[28:29], -v[126:127]
	v_fma_f64 v[177:178], v[120:121], s[24:25], v[130:131]
	v_fma_f64 v[179:180], v[120:121], s[30:31], v[132:133]
	v_fma_f64 v[130:131], v[120:121], s[24:25], -v[130:131]
	v_fma_f64 v[132:133], v[120:121], s[30:31], -v[132:133]
	v_add_f64_e32 v[120:121], v[74:75], v[86:87]
	v_mul_f64_e32 v[193:194], s[18:19], v[161:162]
	v_mul_f64_e32 v[195:196], s[36:37], v[161:162]
	;; [unrolled: 1-line block ×5, first 2 shown]
	v_fma_f64 v[201:202], v[159:160], s[28:29], v[163:164]
	v_fma_f64 v[203:204], v[159:160], s[24:25], v[165:166]
	;; [unrolled: 1-line block ×3, first 2 shown]
	v_fma_f64 v[167:168], v[159:160], s[22:23], -v[167:168]
	v_fma_f64 v[163:164], v[159:160], s[28:29], -v[163:164]
	v_add_f64_e32 v[94:95], v[54:55], v[94:95]
	v_mul_f64_e32 v[102:103], s[12:13], v[4:5]
	v_mul_f64_e32 v[104:105], s[4:5], v[4:5]
	v_add_f64_e32 v[138:139], v[6:7], v[138:139]
	v_add_f64_e32 v[141:142], v[6:7], v[141:142]
	;; [unrolled: 1-line block ×12, first 2 shown]
	v_add_f64_e64 v[106:107], v[84:85], -v[80:81]
	v_fma_f64 v[211:212], v[114:115], s[22:23], -v[108:109]
	v_fma_f64 v[213:214], v[114:115], s[30:31], -v[110:111]
	;; [unrolled: 1-line block ×3, first 2 shown]
	v_fma_f64 v[207:208], v[159:160], s[30:31], v[169:170]
	v_fma_f64 v[209:210], v[159:160], s[38:39], v[122:123]
	v_fma_f64 v[169:170], v[159:160], s[30:31], -v[169:170]
	v_fma_f64 v[159:160], v[159:160], s[38:39], -v[122:123]
	v_add_f64_e32 v[153:154], v[22:23], v[94:95]
	v_add_f64_e64 v[94:95], v[88:89], -v[76:77]
	v_fma_f64 v[181:182], v[112:113], s[38:39], -v[102:103]
	v_fma_f64 v[183:184], v[112:113], s[24:25], -v[104:105]
	v_add_f64_e32 v[138:139], v[171:172], v[138:139]
	v_add_f64_e32 v[143:144], v[173:174], v[143:144]
	;; [unrolled: 1-line block ×11, first 2 shown]
	v_mul_f64_e32 v[171:172], s[36:37], v[191:192]
	v_mul_f64_e32 v[173:174], s[10:11], v[191:192]
	;; [unrolled: 1-line block ×7, first 2 shown]
	v_fma_f64 v[185:186], v[189:190], s[38:39], v[195:196]
	v_fma_f64 v[187:188], v[189:190], s[38:39], -v[195:196]
	v_fma_f64 v[191:192], v[189:190], s[24:25], v[197:198]
	v_fma_f64 v[195:196], v[189:190], s[28:29], v[161:162]
	v_fma_f64 v[161:162], v[189:190], s[28:29], -v[161:162]
	v_add_f64_e32 v[153:154], v[34:35], v[153:154]
	v_mul_f64_e32 v[116:117], s[4:5], v[94:95]
	v_mul_f64_e32 v[118:119], s[20:21], v[94:95]
	v_add_f64_e32 v[128:129], v[183:184], v[155:156]
	v_add_f64_e32 v[155:156], v[181:182], v[157:158]
	;; [unrolled: 1-line block ×3, first 2 shown]
	v_fma_f64 v[181:182], v[189:190], s[30:31], v[193:194]
	v_fma_f64 v[183:184], v[189:190], s[30:31], -v[193:194]
	v_fma_f64 v[193:194], v[189:190], s[22:23], v[199:200]
	v_fma_f64 v[199:200], v[189:190], s[22:23], -v[199:200]
	v_fma_f64 v[189:190], v[189:190], s[24:25], -v[197:198]
	v_add_f64_e32 v[138:139], v[201:202], v[138:139]
	v_add_f64_e32 v[143:144], v[203:204], v[143:144]
	;; [unrolled: 1-line block ×10, first 2 shown]
	v_fma_f64 v[201:202], v[126:127], s[30:31], -v[124:125]
	v_add_f64_e32 v[153:154], v[42:43], v[153:154]
	v_fma_f64 v[197:198], v[120:121], s[24:25], -v[116:117]
	v_fma_f64 v[215:216], v[120:121], s[22:23], -v[118:119]
	v_add_f64_e32 v[128:129], v[213:214], v[128:129]
	v_add_f64_e32 v[155:156], v[211:212], v[155:156]
	v_fma_f64 v[159:160], v[157:158], s[38:39], v[171:172]
	v_fma_f64 v[163:164], v[157:158], s[38:39], -v[171:172]
	v_fma_f64 v[165:166], v[157:158], s[22:23], v[173:174]
	v_fma_f64 v[167:168], v[157:158], s[22:23], -v[173:174]
	v_fma_f64 v[169:170], v[157:158], s[30:31], v[175:176]
	v_fma_f64 v[171:172], v[157:158], s[28:29], v[177:178]
	;; [unrolled: 1-line block ×3, first 2 shown]
	v_fma_f64 v[177:178], v[157:158], s[28:29], -v[177:178]
	v_fma_f64 v[179:180], v[157:158], s[24:25], -v[179:180]
	;; [unrolled: 1-line block ×4, first 2 shown]
	v_add_f64_e32 v[138:139], v[181:182], v[138:139]
	v_add_f64_e32 v[143:144], v[185:186], v[143:144]
	;; [unrolled: 1-line block ×23, first 2 shown]
	v_mad_u32_u24 v143, 0x58, v140, 0
	v_add_f64_e32 v[153:154], v[14:15], v[153:154]
	v_add_f64_e32 v[138:139], v[175:176], v[128:129]
	;; [unrolled: 1-line block ×3, first 2 shown]
	s_delay_alu instid0(VALU_DEP_3)
	v_add_f64_e32 v[152:153], v[10:11], v[153:154]
	ds_store_2addr_b64 v143, v[159:160], v[161:162] offset0:4 offset1:5
	ds_store_2addr_b64 v143, v[144:145], v[141:142] offset0:6 offset1:7
	ds_store_2addr_b64 v143, v[152:153], v[146:147] offset1:1
	ds_store_2addr_b64 v143, v[148:149], v[150:151] offset0:2 offset1:3
	ds_store_2addr_b64 v143, v[132:133], v[130:131] offset0:8 offset1:9
	ds_store_b64 v143, v[157:158] offset:80
	s_and_saveexec_b32 s0, s1
	s_cbranch_execz .LBB0_17
; %bb.16:
	v_add_f64_e32 v[128:129], v[50:51], v[0:1]
	v_mul_f64_e32 v[141:142], s[22:23], v[100:101]
	v_mul_f64_e32 v[144:145], s[38:39], v[100:101]
	;; [unrolled: 1-line block ×5, first 2 shown]
	s_mov_b32 s41, 0x3fe82f19
	s_mov_b32 s40, s4
	v_mul_f64_e32 v[146:147], s[28:29], v[112:113]
	v_mul_f64_e32 v[148:149], s[22:23], v[112:113]
	v_mul_f64_e32 v[150:151], s[38:39], v[112:113]
	v_mul_f64_e32 v[152:153], s[30:31], v[112:113]
	v_mul_f64_e32 v[112:113], s[24:25], v[112:113]
	v_mul_f64_e32 v[160:161], s[28:29], v[114:115]
	v_add_f64_e32 v[128:129], v[66:67], v[128:129]
	v_fma_f64 v[158:159], v[90:91], s[10:11], v[141:142]
	v_add_f64_e32 v[98:99], v[98:99], v[144:145]
	v_fma_f64 v[154:155], v[90:91], s[34:35], v[130:131]
	v_fma_f64 v[130:131], v[90:91], s[18:19], v[130:131]
	;; [unrolled: 1-line block ×5, first 2 shown]
	v_add_f64_e32 v[96:97], v[96:97], v[100:101]
	v_mul_f64_e32 v[141:142], s[30:31], v[114:115]
	v_mul_f64_e32 v[144:145], s[24:25], v[114:115]
	v_fma_f64 v[162:163], v[4:5], s[14:15], v[146:147]
	v_fma_f64 v[146:147], v[4:5], s[26:27], v[146:147]
	;; [unrolled: 1-line block ×6, first 2 shown]
	v_add_f64_e32 v[104:105], v[104:105], v[112:113]
	v_add_f64_e32 v[102:103], v[102:103], v[150:151]
	v_fma_f64 v[170:171], v[92:93], s[26:27], v[160:161]
	v_fma_f64 v[160:161], v[92:93], s[14:15], v[160:161]
	v_add_f64_e32 v[128:129], v[70:71], v[128:129]
	v_add_f64_e32 v[152:153], v[0:1], v[158:159]
	;; [unrolled: 1-line block ×9, first 2 shown]
	v_mul_f64_e32 v[154:155], s[22:23], v[120:121]
	v_mul_f64_e32 v[156:157], s[38:39], v[120:121]
	;; [unrolled: 1-line block ×3, first 2 shown]
	v_fma_f64 v[168:169], v[92:93], s[40:41], v[144:145]
	v_fma_f64 v[144:145], v[92:93], s[4:5], v[144:145]
	v_add_f64_e32 v[110:111], v[110:111], v[141:142]
	v_mul_f64_e32 v[141:142], s[38:39], v[126:127]
	v_add_f64_e32 v[128:129], v[86:87], v[128:129]
	v_add_f64_e32 v[4:5], v[4:5], v[152:153]
	;; [unrolled: 1-line block ×7, first 2 shown]
	v_mul_f64_e32 v[102:103], s[30:31], v[126:127]
	v_mul_f64_e32 v[132:133], s[22:23], v[126:127]
	v_fma_f64 v[148:149], v[94:95], s[36:37], v[156:157]
	v_fma_f64 v[152:153], v[94:95], s[18:19], v[158:159]
	v_add_f64_e32 v[118:119], v[118:119], v[154:155]
	v_add_f64_e32 v[100:101], v[82:83], v[128:129]
	v_mul_f64_e32 v[128:129], s[22:23], v[114:115]
	v_mul_f64_e32 v[114:115], s[38:39], v[114:115]
	v_add_f64_e32 v[112:113], v[168:169], v[112:113]
	v_add_f64_e32 v[102:103], v[124:125], v[102:103]
	;; [unrolled: 1-line block ×3, first 2 shown]
	v_mul_f64_e32 v[100:101], s[24:25], v[120:121]
	v_mul_f64_e32 v[120:121], s[28:29], v[120:121]
	v_fma_f64 v[172:173], v[92:93], s[12:13], v[114:115]
	v_fma_f64 v[92:93], v[92:93], s[36:37], v[114:115]
	v_add_f64_e32 v[114:115], v[146:147], v[130:131]
	v_add_f64_e32 v[108:109], v[108:109], v[128:129]
	;; [unrolled: 1-line block ×3, first 2 shown]
	v_mul_f64_e32 v[130:131], s[28:29], v[126:127]
	v_mul_f64_e32 v[126:127], s[24:25], v[126:127]
	v_fma_f64 v[146:147], v[94:95], s[12:13], v[156:157]
	v_fma_f64 v[150:151], v[94:95], s[34:35], v[158:159]
	v_add_f64_e32 v[96:97], v[74:75], v[96:97]
	v_add_f64_e32 v[100:101], v[116:117], v[100:101]
	v_fma_f64 v[156:157], v[94:95], s[26:27], v[120:121]
	v_fma_f64 v[94:95], v[94:95], s[14:15], v[120:121]
	v_add_f64_e32 v[4:5], v[92:93], v[4:5]
	v_add_f64_e32 v[92:93], v[110:111], v[98:99]
	;; [unrolled: 1-line block ×7, first 2 shown]
	v_fma_f64 v[104:105], v[106:107], s[20:21], v[132:133]
	v_fma_f64 v[108:109], v[106:107], s[10:11], v[132:133]
	;; [unrolled: 1-line block ×6, first 2 shown]
	v_add_f64_e32 v[122:123], v[122:123], v[130:131]
	v_add_f64_e32 v[112:113], v[146:147], v[112:113]
	;; [unrolled: 1-line block ×19, first 2 shown]
	v_add_nc_u32_e32 v102, 0x12f8, v143
	v_add_nc_u32_e32 v103, 0x1308, v143
	;; [unrolled: 1-line block ×5, first 2 shown]
	v_add_f64_e32 v[96:97], v[26:27], v[96:97]
	ds_store_2addr_b64 v102, v[92:93], v[4:5] offset1:1
	ds_store_2addr_b64 v103, v[94:95], v[100:101] offset1:1
	;; [unrolled: 1-line block ×5, first 2 shown]
	ds_store_b64 v143, v[6:7] offset:4920
.LBB0_17:
	s_wait_alu 0xfffe
	s_or_b32 exec_lo, exec_lo, s0
	v_mad_i32_i24 v141, 0xffffffb0, v140, v143
	global_wb scope:SCOPE_SE
	s_wait_dscnt 0x0
	s_wait_kmcnt 0x0
	s_barrier_signal -1
	s_barrier_wait -1
	global_inv scope:SCOPE_SE
	v_add_nc_u32_e32 v0, 0x400, v141
	v_add_nc_u32_e32 v1, 0xc00, v141
	;; [unrolled: 1-line block ×3, first 2 shown]
	ds_load_2addr_b64 v[94:97], v141 offset1:55
	v_add_nc_u32_e32 v5, 0x1800, v141
	ds_load_2addr_b64 v[130:133], v0 offset0:103 offset1:158
	ds_load_2addr_b64 v[126:129], v1 offset0:78 offset1:133
	v_add_nc_u32_e32 v0, 0x800, v141
	v_add_nc_u32_e32 v1, 0x2000, v141
	ds_load_2addr_b64 v[122:125], v4 offset0:181 offset1:236
	ds_load_2addr_b64 v[118:121], v5 offset0:156 offset1:211
	;; [unrolled: 1-line block ×7, first 2 shown]
	v_cmp_gt_u32_e64 s0, 11, v140
                                        ; implicit-def: $vgpr0_vgpr1
                                        ; implicit-def: $vgpr92_vgpr93
	s_delay_alu instid0(VALU_DEP_1)
	s_and_saveexec_b32 s4, s0
	s_cbranch_execz .LBB0_19
; %bb.18:
	v_add_nc_u32_e32 v0, 0x680, v141
	v_add_nc_u32_e32 v1, 0x1500, v141
	ds_load_2addr_b64 v[4:7], v0 offset0:12 offset1:243
	ds_load_2addr_b64 v[90:93], v1 offset0:10 offset1:241
	ds_load_b64 v[0:1], v141 offset:9152
	s_wait_dscnt 0x2
	v_dual_mov_b32 v139, v5 :: v_dual_mov_b32 v138, v4
.LBB0_19:
	s_wait_alu 0xfffe
	s_or_b32 exec_lo, exec_lo, s4
	v_add_f64_e32 v[4:5], v[64:65], v[8:9]
	v_add_f64_e64 v[10:11], v[62:63], -v[10:11]
	v_add_f64_e64 v[62:63], v[50:51], -v[26:27]
	s_mov_b32 s24, 0xf8bb580b
	s_mov_b32 s28, 0x8eee2c13
	;; [unrolled: 1-line block ×10, first 2 shown]
	v_add_f64_e64 v[14:15], v[58:59], -v[14:15]
	v_add_f64_e32 v[144:145], v[12:13], v[64:65]
	v_add_f64_e64 v[26:27], v[66:67], -v[30:31]
	v_add_f64_e32 v[50:51], v[28:29], v[52:53]
	s_mov_b32 s4, 0x8764f0ba
	s_mov_b32 s12, 0xd9c712b6
	;; [unrolled: 1-line block ×12, first 2 shown]
	s_wait_alu 0xfffe
	s_mov_b32 s36, s26
	s_mov_b32 s34, s18
	s_mov_b32 s30, s24
	s_mov_b32 s23, 0xbfeeb42a
	v_add_f64_e64 v[150:151], v[38:39], -v[18:19]
	v_add_f64_e32 v[152:153], v[16:17], v[60:61]
	v_add_f64_e64 v[18:19], v[70:71], -v[46:47]
	v_add_f64_e32 v[38:39], v[32:33], v[68:69]
	v_add_f64_e32 v[176:177], v[20:21], v[40:41]
	;; [unrolled: 1-line block ×3, first 2 shown]
	v_mul_f64_e32 v[30:31], s[24:25], v[10:11]
	v_mul_f64_e32 v[66:67], s[28:29], v[10:11]
	;; [unrolled: 1-line block ×7, first 2 shown]
	v_add_f64_e64 v[54:55], v[54:55], -v[42:43]
	v_add_f64_e64 v[196:197], v[22:23], -v[34:35]
	v_add_nc_u32_e32 v142, 55, v140
	global_wb scope:SCOPE_SE
	s_wait_dscnt 0x0
	s_barrier_signal -1
	v_mul_f64_e32 v[70:71], s[28:29], v[14:15]
	v_mul_f64_e32 v[154:155], s[20:21], v[14:15]
	s_wait_alu 0xfffe
	v_mul_f64_e32 v[156:157], s[36:37], v[14:15]
	v_mul_f64_e32 v[158:159], s[34:35], v[14:15]
	;; [unrolled: 1-line block ×5, first 2 shown]
	s_mov_b32 s29, 0x3fed1bb4
	s_barrier_wait -1
	global_inv scope:SCOPE_SE
	s_wait_alu 0xfffe
	v_mul_f64_e32 v[178:179], s[28:29], v[150:151]
	v_mul_f64_e32 v[180:181], s[24:25], v[150:151]
	;; [unrolled: 1-line block ×3, first 2 shown]
	v_add_f64_e32 v[4:5], v[40:41], v[4:5]
	v_fma_f64 v[160:161], v[144:145], s[4:5], -v[30:31]
	v_fma_f64 v[162:163], v[144:145], s[4:5], v[30:31]
	v_fma_f64 v[164:165], v[144:145], s[12:13], -v[66:67]
	v_fma_f64 v[66:67], v[144:145], s[12:13], v[66:67]
	;; [unrolled: 2-line block ×5, first 2 shown]
	v_fma_f64 v[172:173], v[50:51], s[4:5], v[58:59]
	v_fma_f64 v[174:175], v[50:51], s[12:13], v[64:65]
	v_add_f64_e32 v[10:11], v[48:49], v[72:73]
	v_add_f64_e64 v[30:31], v[86:87], -v[74:75]
	v_mul_f64_e32 v[74:75], s[18:19], v[150:151]
	v_mul_f64_e32 v[86:87], s[36:37], v[150:151]
	;; [unrolled: 1-line block ×4, first 2 shown]
	v_fma_f64 v[182:183], v[152:153], s[12:13], -v[70:71]
	v_fma_f64 v[70:71], v[152:153], s[12:13], v[70:71]
	v_fma_f64 v[184:185], v[152:153], s[14:15], -v[154:155]
	v_fma_f64 v[154:155], v[152:153], s[14:15], v[154:155]
	;; [unrolled: 2-line block ×5, first 2 shown]
	v_fma_f64 v[192:193], v[38:39], s[12:13], v[46:47]
	v_fma_f64 v[194:195], v[38:39], s[14:15], v[60:61]
	v_add_f64_e64 v[14:15], v[82:83], -v[78:79]
	v_mul_f64_e32 v[78:79], s[20:21], v[54:55]
	v_mul_f64_e32 v[82:83], s[34:35], v[54:55]
	;; [unrolled: 1-line block ×5, first 2 shown]
	v_fma_f64 v[206:207], v[176:177], s[12:13], -v[178:179]
	v_add_f64_e32 v[4:5], v[56:57], v[4:5]
	v_add_f64_e32 v[160:161], v[8:9], v[160:161]
	;; [unrolled: 1-line block ×15, first 2 shown]
	v_mul_f64_e32 v[22:23], s[20:21], v[30:31]
	v_mul_f64_e32 v[34:35], s[34:35], v[30:31]
	v_fma_f64 v[202:203], v[176:177], s[10:11], -v[74:75]
	v_fma_f64 v[74:75], v[176:177], s[10:11], v[74:75]
	v_fma_f64 v[204:205], v[176:177], s[22:23], -v[86:87]
	v_fma_f64 v[86:87], v[176:177], s[22:23], v[86:87]
	v_fma_f64 v[178:179], v[176:177], s[12:13], v[178:179]
	v_fma_f64 v[208:209], v[176:177], s[4:5], -v[180:181]
	v_fma_f64 v[180:181], v[176:177], s[4:5], v[180:181]
	v_fma_f64 v[210:211], v[176:177], s[14:15], -v[150:151]
	v_fma_f64 v[150:151], v[176:177], s[14:15], v[150:151]
	v_fma_f64 v[176:177], v[10:11], s[10:11], v[40:41]
	;; [unrolled: 1-line block ×3, first 2 shown]
	v_add_f64_e32 v[4:5], v[24:25], v[4:5]
	v_add_f64_e32 v[160:161], v[182:183], v[160:161]
	v_add_f64_e32 v[70:71], v[70:71], v[162:163]
	v_add_f64_e32 v[162:163], v[184:185], v[164:165]
	v_add_f64_e32 v[66:67], v[154:155], v[66:67]
	v_add_f64_e32 v[154:155], v[188:189], v[166:167]
	v_add_f64_e32 v[146:147], v[158:159], v[146:147]
	v_add_f64_e32 v[158:159], v[190:191], v[168:169]
	v_add_f64_e32 v[148:149], v[152:153], v[148:149]
	v_add_f64_e32 v[152:153], v[186:187], v[170:171]
	v_add_f64_e32 v[144:145], v[156:157], v[144:145]
	v_add_f64_e32 v[156:157], v[192:193], v[172:173]
	v_add_f64_e32 v[164:165], v[194:195], v[174:175]
	v_add_f64_e32 v[166:167], v[36:37], v[24:25]
	v_add_f64_e32 v[24:25], v[80:81], v[84:85]
	v_mul_f64_e32 v[168:169], s[26:27], v[196:197]
	v_mul_f64_e32 v[170:171], s[30:31], v[196:197]
	;; [unrolled: 1-line block ×5, first 2 shown]
	v_fma_f64 v[184:185], v[56:57], s[14:15], -v[78:79]
	v_fma_f64 v[78:79], v[56:57], s[14:15], v[78:79]
	v_fma_f64 v[186:187], v[56:57], s[10:11], -v[82:83]
	v_fma_f64 v[82:83], v[56:57], s[10:11], v[82:83]
	;; [unrolled: 2-line block ×5, first 2 shown]
	v_fma_f64 v[56:57], v[8:9], s[14:15], v[22:23]
	v_fma_f64 v[198:199], v[8:9], s[10:11], v[34:35]
	v_add_f64_e32 v[4:5], v[36:37], v[4:5]
	v_mul_f64_e32 v[36:37], s[26:27], v[14:15]
	v_add_f64_e32 v[70:71], v[74:75], v[70:71]
	v_add_f64_e32 v[160:161], v[202:203], v[160:161]
	;; [unrolled: 1-line block ×10, first 2 shown]
	v_fma_f64 v[156:157], v[166:167], s[22:23], -v[168:169]
	v_fma_f64 v[158:159], v[166:167], s[22:23], v[168:169]
	v_fma_f64 v[162:163], v[166:167], s[4:5], -v[170:171]
	v_fma_f64 v[168:169], v[166:167], s[14:15], -v[172:173]
	v_fma_f64 v[176:177], v[166:167], s[10:11], -v[182:183]
	v_add_f64_e32 v[4:5], v[44:45], v[4:5]
	v_mul_f64_e32 v[44:45], s[30:31], v[14:15]
	v_fma_f64 v[178:179], v[24:25], s[22:23], v[36:37]
	v_add_f64_e32 v[70:71], v[78:79], v[70:71]
	v_add_f64_e32 v[66:67], v[82:83], v[66:67]
	;; [unrolled: 1-line block ×12, first 2 shown]
	v_fma_f64 v[164:165], v[166:167], s[4:5], v[170:171]
	v_fma_f64 v[170:171], v[166:167], s[14:15], v[172:173]
	v_fma_f64 v[172:173], v[166:167], s[12:13], -v[174:175]
	v_fma_f64 v[174:175], v[166:167], s[12:13], v[174:175]
	v_fma_f64 v[166:167], v[166:167], s[10:11], v[182:183]
	;; [unrolled: 1-line block ×3, first 2 shown]
	v_add_f64_e32 v[86:87], v[176:177], v[86:87]
	v_add_f64_e32 v[146:147], v[156:157], v[160:161]
	;; [unrolled: 1-line block ×17, first 2 shown]
	ds_store_2addr_b64 v143, v[78:79], v[86:87] offset0:4 offset1:5
	ds_store_2addr_b64 v143, v[148:149], v[82:83] offset0:6 offset1:7
	ds_store_2addr_b64 v143, v[12:13], v[146:147] offset1:1
	ds_store_2addr_b64 v143, v[74:75], v[16:17] offset0:2 offset1:3
	ds_store_2addr_b64 v143, v[20:21], v[66:67] offset0:8 offset1:9
	ds_store_b64 v143, v[70:71] offset:80
	s_and_saveexec_b32 s33, s1
	s_cbranch_execz .LBB0_21
; %bb.20:
	v_add_f64_e32 v[12:13], v[52:53], v[2:3]
	v_mul_f64_e32 v[16:17], s[4:5], v[50:51]
	v_mul_f64_e32 v[20:21], s[12:13], v[50:51]
	;; [unrolled: 1-line block ×9, first 2 shown]
	v_add_f64_e32 v[12:13], v[68:69], v[12:13]
	v_mul_f64_e32 v[68:69], s[14:15], v[38:39]
	v_add_f64_e64 v[16:17], v[16:17], -v[58:59]
	v_add_f64_e64 v[20:21], v[20:21], -v[64:65]
	v_fma_f64 v[58:59], v[50:51], s[14:15], -v[52:53]
	v_fma_f64 v[52:53], v[50:51], s[14:15], v[52:53]
	v_fma_f64 v[64:65], v[50:51], s[22:23], -v[56:57]
	v_fma_f64 v[56:57], v[50:51], s[22:23], v[56:57]
	;; [unrolled: 2-line block ×3, first 2 shown]
	v_mul_f64_e32 v[62:63], s[10:11], v[10:11]
	v_add_f64_e64 v[46:47], v[66:67], -v[46:47]
	v_fma_f64 v[66:67], v[38:39], s[22:23], -v[70:71]
	v_add_f64_e64 v[42:43], v[78:79], -v[42:43]
	v_fma_f64 v[78:79], v[10:11], s[12:13], v[82:83]
	v_add_f64_e32 v[12:13], v[72:73], v[12:13]
	v_mul_f64_e32 v[72:73], s[34:35], v[26:27]
	v_mul_f64_e32 v[26:27], s[30:31], v[26:27]
	v_add_f64_e64 v[60:61], v[68:69], -v[60:61]
	v_fma_f64 v[68:69], v[38:39], s[22:23], v[70:71]
	v_add_f64_e32 v[16:17], v[2:3], v[16:17]
	v_add_f64_e32 v[20:21], v[2:3], v[20:21]
	;; [unrolled: 1-line block ×4, first 2 shown]
	v_add_f64_e64 v[40:41], v[62:63], -v[40:41]
	v_fma_f64 v[62:63], v[10:11], s[12:13], -v[82:83]
	v_add_f64_e32 v[12:13], v[88:89], v[12:13]
	v_fma_f64 v[70:71], v[38:39], s[10:11], -v[72:73]
	v_fma_f64 v[72:73], v[38:39], s[10:11], v[72:73]
	v_fma_f64 v[86:87], v[38:39], s[4:5], -v[26:27]
	v_fma_f64 v[26:27], v[38:39], s[4:5], v[26:27]
	v_add_f64_e32 v[38:39], v[2:3], v[58:59]
	v_add_f64_e32 v[58:59], v[2:3], v[64:65]
	;; [unrolled: 1-line block ×4, first 2 shown]
	v_mul_f64_e32 v[50:51], s[14:15], v[8:9]
	v_mul_f64_e32 v[88:89], s[26:27], v[30:31]
	v_add_f64_e32 v[16:17], v[46:47], v[16:17]
	v_mul_f64_e32 v[74:75], s[10:11], v[8:9]
	v_add_f64_e32 v[12:13], v[84:85], v[12:13]
	v_mul_f64_e32 v[84:85], s[24:25], v[18:19]
	v_mul_f64_e32 v[18:19], s[20:21], v[18:19]
	v_add_f64_e32 v[26:27], v[26:27], v[56:57]
	v_mul_f64_e32 v[56:57], s[22:23], v[24:25]
	v_add_f64_e32 v[46:47], v[86:87], v[58:59]
	;; [unrolled: 2-line block ×3, first 2 shown]
	v_add_f64_e64 v[22:23], v[50:51], -v[22:23]
	v_fma_f64 v[68:69], v[8:9], s[22:23], -v[88:89]
	v_add_f64_e32 v[16:17], v[40:41], v[16:17]
	v_add_f64_e64 v[34:35], v[74:75], -v[34:35]
	v_add_f64_e32 v[12:13], v[80:81], v[12:13]
	v_mul_f64_e32 v[80:81], s[24:25], v[30:31]
	v_mul_f64_e32 v[30:31], s[28:29], v[30:31]
	v_fma_f64 v[82:83], v[10:11], s[4:5], -v[84:85]
	v_fma_f64 v[84:85], v[10:11], s[4:5], v[84:85]
	v_fma_f64 v[143:144], v[10:11], s[14:15], -v[18:19]
	v_fma_f64 v[10:11], v[10:11], s[14:15], v[18:19]
	v_add_f64_e32 v[18:19], v[60:61], v[20:21]
	v_add_f64_e32 v[20:21], v[70:71], v[38:39]
	;; [unrolled: 1-line block ×4, first 2 shown]
	v_mul_f64_e32 v[60:61], s[20:21], v[14:15]
	v_mul_f64_e32 v[64:65], s[28:29], v[14:15]
	;; [unrolled: 1-line block ×3, first 2 shown]
	v_fma_f64 v[70:71], v[8:9], s[22:23], v[88:89]
	v_add_f64_e32 v[2:3], v[78:79], v[2:3]
	v_add_f64_e64 v[40:41], v[58:59], -v[44:45]
	v_add_f64_e32 v[16:17], v[22:23], v[16:17]
	v_add_f64_e64 v[36:37], v[56:57], -v[36:37]
	v_add_f64_e32 v[12:13], v[76:77], v[12:13]
	v_fma_f64 v[50:51], v[8:9], s[4:5], -v[80:81]
	v_fma_f64 v[66:67], v[8:9], s[4:5], v[80:81]
	v_fma_f64 v[72:73], v[8:9], s[12:13], -v[30:31]
	v_fma_f64 v[8:9], v[8:9], s[12:13], v[30:31]
	v_add_f64_e32 v[10:11], v[10:11], v[26:27]
	v_add_f64_e32 v[18:19], v[42:43], v[18:19]
	;; [unrolled: 1-line block ×6, first 2 shown]
	v_fma_f64 v[42:43], v[24:25], s[14:15], -v[60:61]
	v_fma_f64 v[44:45], v[24:25], s[14:15], v[60:61]
	v_fma_f64 v[46:47], v[24:25], s[12:13], -v[64:65]
	v_fma_f64 v[52:53], v[24:25], s[10:11], -v[14:15]
	v_fma_f64 v[14:15], v[24:25], s[10:11], v[14:15]
	v_add_f64_e32 v[16:17], v[36:37], v[16:17]
	v_add_f64_e32 v[12:13], v[48:49], v[12:13]
	v_fma_f64 v[48:49], v[24:25], s[12:13], v[64:65]
	v_add_f64_e32 v[2:3], v[66:67], v[2:3]
	v_add_f64_e32 v[8:9], v[8:9], v[10:11]
	;; [unrolled: 1-line block ×14, first 2 shown]
	v_mad_u32_u24 v14, 0x58, v142, 0
	v_add_f64_e32 v[10:11], v[28:29], v[10:11]
	v_add_f64_e32 v[12:13], v[42:43], v[12:13]
	ds_store_2addr_b64 v14, v[20:21], v[24:25] offset0:4 offset1:5
	ds_store_2addr_b64 v14, v[8:9], v[22:23] offset0:6 offset1:7
	ds_store_2addr_b64 v14, v[10:11], v[16:17] offset1:1
	ds_store_2addr_b64 v14, v[18:19], v[12:13] offset0:2 offset1:3
	ds_store_2addr_b64 v14, v[2:3], v[54:55] offset0:8 offset1:9
	ds_store_b64 v14, v[4:5] offset:80
.LBB0_21:
	s_or_b32 exec_lo, exec_lo, s33
	v_add_nc_u32_e32 v2, 0x400, v141
	v_add_nc_u32_e32 v3, 0xc00, v141
	;; [unrolled: 1-line block ×3, first 2 shown]
	global_wb scope:SCOPE_SE
	s_wait_dscnt 0x0
	s_barrier_signal -1
	s_barrier_wait -1
	global_inv scope:SCOPE_SE
	ds_load_2addr_b64 v[8:11], v141 offset1:55
	v_add_nc_u32_e32 v17, 0x1800, v141
	ds_load_2addr_b64 v[36:39], v2 offset0:103 offset1:158
	ds_load_2addr_b64 v[40:43], v3 offset0:78 offset1:133
	v_add_nc_u32_e32 v2, 0x800, v141
	v_add_nc_u32_e32 v3, 0x2000, v141
	ds_load_2addr_b64 v[44:47], v16 offset0:181 offset1:236
	ds_load_2addr_b64 v[48:51], v17 offset0:156 offset1:211
	;; [unrolled: 1-line block ×7, first 2 shown]
                                        ; implicit-def: $vgpr52_vgpr53
                                        ; implicit-def: $vgpr18_vgpr19
	s_and_saveexec_b32 s1, s0
	s_cbranch_execz .LBB0_23
; %bb.22:
	v_add_nc_u32_e32 v2, 0x680, v141
	v_add_nc_u32_e32 v16, 0x1500, v141
	ds_load_2addr_b64 v[2:5], v2 offset0:12 offset1:243
	ds_load_2addr_b64 v[16:19], v16 offset0:10 offset1:241
	ds_load_b64 v[52:53], v141 offset:9152
	s_wait_dscnt 0x2
	v_dual_mov_b32 v55, v3 :: v_dual_mov_b32 v54, v2
.LBB0_23:
	s_wait_alu 0xfffe
	s_or_b32 exec_lo, exec_lo, s1
	v_and_b32_e32 v2, 0xff, v140
	v_and_b32_e32 v3, 0xff, v142
	v_add_nc_u32_e32 v143, 0x6e, v140
	v_add_nc_u32_e32 v144, 0xa5, v140
	;; [unrolled: 1-line block ×3, first 2 shown]
	v_mul_lo_u16 v2, 0x75, v2
	v_mul_lo_u16 v3, 0x75, v3
	v_and_b32_e32 v146, 0xff, v143
	v_and_b32_e32 v58, 0xff, v144
	s_mov_b32 s4, 0x134454ff
	v_lshrrev_b16 v2, 8, v2
	v_lshrrev_b16 v3, 8, v3
	v_mul_lo_u16 v59, 0x75, v146
	v_mul_lo_u16 v58, 0x75, v58
	s_mov_b32 s5, 0xbfee6f0e
	v_sub_nc_u16 v56, v140, v2
	v_sub_nc_u16 v57, v142, v3
	v_lshrrev_b16 v59, 8, v59
	v_lshrrev_b16 v58, 8, v58
	s_mov_b32 s11, 0x3fee6f0e
	v_lshrrev_b16 v56, 1, v56
	v_lshrrev_b16 v57, 1, v57
	v_sub_nc_u16 v60, v143, v59
	s_wait_alu 0xfffe
	s_mov_b32 s10, s4
	s_mov_b32 s12, 0x4755a5e
	v_and_b32_e32 v56, 0x7f, v56
	v_and_b32_e32 v57, 0x7f, v57
	s_mov_b32 s13, 0xbfe2cf23
	s_mov_b32 s15, 0x3fe2cf23
	s_wait_alu 0xfffe
	s_mov_b32 s14, s12
	v_add_nc_u16 v2, v56, v2
	v_sub_nc_u16 v56, v144, v58
	v_add_nc_u16 v3, v57, v3
	v_lshrrev_b16 v57, 1, v60
	s_mov_b32 s18, 0x372fe950
	v_lshrrev_b16 v150, 3, v2
	v_lshrrev_b16 v2, 1, v56
	v_lshrrev_b16 v147, 3, v3
	v_and_b32_e32 v3, 0x7f, v57
	s_mov_b32 s19, 0x3fd3c6ef
	v_mul_lo_u16 v56, v150, 11
	v_and_b32_e32 v2, 0x7f, v2
	v_mul_lo_u16 v57, v147, 11
	v_add_nc_u16 v3, v3, v59
	s_delay_alu instid0(VALU_DEP_4) | instskip(NEXT) | instid1(VALU_DEP_4)
	v_sub_nc_u16 v56, v140, v56
	v_add_nc_u16 v2, v2, v58
	s_delay_alu instid0(VALU_DEP_4) | instskip(NEXT) | instid1(VALU_DEP_4)
	v_sub_nc_u16 v57, v142, v57
	v_lshrrev_b16 v154, 3, v3
	s_delay_alu instid0(VALU_DEP_4) | instskip(NEXT) | instid1(VALU_DEP_4)
	v_and_b32_e32 v148, 0xff, v56
	v_lshrrev_b16 v153, 3, v2
	s_delay_alu instid0(VALU_DEP_4) | instskip(NEXT) | instid1(VALU_DEP_4)
	v_and_b32_e32 v149, 0xff, v57
	v_mul_lo_u16 v2, v154, 11
	s_delay_alu instid0(VALU_DEP_4) | instskip(NEXT) | instid1(VALU_DEP_4)
	v_lshlrev_b32_e32 v3, 6, v148
	v_mul_lo_u16 v57, v153, 11
	s_delay_alu instid0(VALU_DEP_4) | instskip(NEXT) | instid1(VALU_DEP_4)
	v_lshlrev_b32_e32 v56, 6, v149
	v_sub_nc_u16 v2, v143, v2
	s_clause 0x1
	global_load_b128 v[58:61], v3, s[8:9]
	global_load_b128 v[155:158], v56, s[8:9]
	v_sub_nc_u16 v57, v144, v57
	v_and_b32_e32 v151, 0xff, v2
	s_clause 0x5
	global_load_b128 v[159:162], v3, s[8:9] offset:16
	global_load_b128 v[163:166], v56, s[8:9] offset:16
	;; [unrolled: 1-line block ×6, first 2 shown]
	v_and_b32_e32 v152, 0xff, v57
	v_lshlrev_b32_e32 v2, 6, v151
	s_delay_alu instid0(VALU_DEP_2)
	v_lshlrev_b32_e32 v3, 6, v152
	s_clause 0x7
	global_load_b128 v[183:186], v2, s[8:9]
	global_load_b128 v[187:190], v2, s[8:9] offset:16
	global_load_b128 v[191:194], v2, s[8:9] offset:32
	global_load_b128 v[195:198], v3, s[8:9]
	global_load_b128 v[199:202], v2, s[8:9] offset:48
	global_load_b128 v[203:206], v3, s[8:9] offset:16
	;; [unrolled: 1-line block ×4, first 2 shown]
	v_and_b32_e32 v2, 0xffff, v145
	s_delay_alu instid0(VALU_DEP_1) | instskip(NEXT) | instid1(VALU_DEP_1)
	v_mul_u32_u24_e32 v2, 0xba2f, v2
	v_lshrrev_b32_e32 v2, 19, v2
	s_delay_alu instid0(VALU_DEP_1) | instskip(NEXT) | instid1(VALU_DEP_1)
	v_mul_lo_u16 v2, v2, 11
	v_sub_nc_u16 v2, v145, v2
	s_delay_alu instid0(VALU_DEP_1) | instskip(NEXT) | instid1(VALU_DEP_1)
	v_and_b32_e32 v239, 0xffff, v2
	v_lshlrev_b32_e32 v2, 6, v239
	s_clause 0x3
	global_load_b128 v[215:218], v2, s[8:9]
	global_load_b128 v[219:222], v2, s[8:9] offset:16
	global_load_b128 v[223:226], v2, s[8:9] offset:32
	;; [unrolled: 1-line block ×3, first 2 shown]
	global_wb scope:SCOPE_SE
	s_wait_loadcnt_dscnt 0x0
	s_barrier_signal -1
	s_barrier_wait -1
	global_inv scope:SCOPE_SE
	v_mul_f64_e32 v[2:3], v[36:37], v[60:61]
	v_mul_f64_e32 v[56:57], v[38:39], v[157:158]
	;; [unrolled: 1-line block ×24, first 2 shown]
	v_fma_f64 v[62:63], v[130:131], v[58:59], v[2:3]
	v_fma_f64 v[56:57], v[132:133], v[155:156], v[56:57]
	v_mul_f64_e32 v[130:131], v[114:115], v[185:186]
	v_mul_f64_e32 v[132:133], v[116:117], v[197:198]
	v_fma_f64 v[64:65], v[126:127], v[159:160], v[64:65]
	v_fma_f64 v[60:61], v[128:129], v[163:164], v[66:67]
	v_mul_f64_e32 v[126:127], v[102:103], v[189:190]
	v_fma_f64 v[68:69], v[122:123], v[167:168], v[68:69]
	v_fma_f64 v[66:67], v[124:125], v[171:172], v[70:71]
	v_mul_f64_e32 v[122:123], v[110:111], v[201:202]
	v_mul_f64_e32 v[124:125], v[106:107], v[193:194]
	v_fma_f64 v[88:89], v[118:119], v[175:176], v[72:73]
	v_fma_f64 v[72:73], v[120:121], v[179:180], v[74:75]
	v_mul_f64_e32 v[118:119], v[112:113], v[213:214]
	v_fma_f64 v[80:81], v[114:115], v[183:184], v[76:77]
	v_fma_f64 v[74:75], v[102:103], v[187:188], v[78:79]
	;; [unrolled: 1-line block ×7, first 2 shown]
	v_mul_f64_e32 v[128:129], v[104:105], v[205:206]
	v_mul_f64_e32 v[120:121], v[108:109], v[209:210]
	v_fma_f64 v[86:87], v[112:113], v[211:212], v[235:236]
	v_fma_f64 v[70:71], v[36:37], v[58:59], -v[237:238]
	v_fma_f64 v[58:59], v[40:41], v[159:160], -v[161:162]
	v_fma_f64 v[40:41], v[44:45], v[167:168], -v[169:170]
	v_fma_f64 v[2:3], v[48:49], v[175:176], -v[177:178]
	v_fma_f64 v[44:45], v[38:39], v[155:156], -v[157:158]
	v_fma_f64 v[38:39], v[46:47], v[171:172], -v[173:174]
	v_fma_f64 v[36:37], v[50:51], v[179:180], -v[181:182]
	v_fma_f64 v[42:43], v[42:43], v[163:164], -v[165:166]
	v_mul_f64_e32 v[201:202], v[6:7], v[217:218]
	v_mul_f64_e32 v[205:206], v[90:91], v[221:222]
	;; [unrolled: 1-line block ×3, first 2 shown]
	v_add_f64_e32 v[114:115], v[94:95], v[62:63]
	v_fma_f64 v[32:33], v[32:33], v[183:184], -v[130:131]
	v_fma_f64 v[34:35], v[34:35], v[195:196], -v[132:133]
	v_add_f64_e64 v[155:156], v[64:65], -v[62:63]
	v_add_f64_e64 v[159:160], v[56:57], -v[60:61]
	v_fma_f64 v[28:29], v[28:29], v[187:188], -v[126:127]
	v_add_f64_e32 v[46:47], v[64:65], v[68:69]
	v_add_f64_e32 v[50:51], v[60:61], v[66:67]
	v_fma_f64 v[24:25], v[24:25], v[199:200], -v[122:123]
	v_fma_f64 v[20:21], v[20:21], v[191:192], -v[124:125]
	v_add_f64_e32 v[48:49], v[62:63], v[88:89]
	v_add_f64_e32 v[104:105], v[56:57], v[72:73]
	v_fma_f64 v[26:27], v[26:27], v[211:212], -v[118:119]
	v_add_f64_e32 v[122:123], v[98:99], v[80:81]
	v_add_f64_e64 v[132:133], v[88:89], -v[68:69]
	v_add_f64_e32 v[106:107], v[74:75], v[82:83]
	v_add_f64_e32 v[124:125], v[100:101], v[76:77]
	;; [unrolled: 1-line block ×3, first 2 shown]
	v_add_f64_e64 v[157:158], v[68:69], -v[88:89]
	v_add_f64_e32 v[110:111], v[78:79], v[84:85]
	v_fma_f64 v[30:31], v[30:31], v[203:204], -v[128:129]
	v_fma_f64 v[22:23], v[22:23], v[207:208], -v[120:121]
	v_add_f64_e32 v[112:113], v[76:77], v[86:87]
	v_add_f64_e32 v[120:121], v[96:97], v[56:57]
	v_add_f64_e64 v[161:162], v[72:73], -v[66:67]
	v_add_f64_e64 v[118:119], v[58:59], -v[40:41]
	;; [unrolled: 1-line block ×13, first 2 shown]
	v_add_f64_e32 v[114:115], v[114:115], v[64:65]
	v_add_f64_e64 v[181:182], v[84:85], -v[86:87]
	v_mul_f64_e32 v[199:200], v[4:5], v[217:218]
	v_mul_f64_e32 v[203:204], v[16:17], v[221:222]
	;; [unrolled: 1-line block ×4, first 2 shown]
	v_fma_f64 v[46:47], v[46:47], -0.5, v[94:95]
	v_fma_f64 v[50:51], v[50:51], -0.5, v[96:97]
	v_add_f64_e64 v[128:129], v[32:33], -v[24:25]
	v_fma_f64 v[48:49], v[48:49], -0.5, v[94:95]
	v_fma_f64 v[96:97], v[104:105], -0.5, v[96:97]
	v_add_f64_e64 v[104:105], v[28:29], -v[20:21]
	v_add_f64_e64 v[130:131], v[34:35], -v[26:27]
	;; [unrolled: 1-line block ×3, first 2 shown]
	v_fma_f64 v[106:107], v[106:107], -0.5, v[98:99]
	v_add_f64_e32 v[122:123], v[122:123], v[74:75]
	v_fma_f64 v[98:99], v[108:109], -0.5, v[98:99]
	v_add_f64_e32 v[124:125], v[124:125], v[78:79]
	v_fma_f64 v[110:111], v[110:111], -0.5, v[100:101]
	v_add_f64_e64 v[108:109], v[30:31], -v[22:23]
	v_fma_f64 v[100:101], v[112:113], -0.5, v[100:101]
	v_add_f64_e64 v[112:113], v[62:63], -v[64:65]
	v_add_f64_e32 v[120:121], v[120:121], v[60:61]
	v_add_f64_e32 v[114:115], v[114:115], v[68:69]
	v_fma_f64 v[90:91], v[90:91], v[219:220], v[203:204]
	v_fma_f64 v[92:93], v[92:93], v[223:224], v[207:208]
	;; [unrolled: 1-line block ×18, first 2 shown]
	v_add_f64_e32 v[112:113], v[112:113], v[132:133]
	v_add_f64_e32 v[132:133], v[155:156], v[157:158]
	;; [unrolled: 1-line block ×11, first 2 shown]
	v_fma_f64 v[167:168], v[118:119], s[12:13], v[183:184]
	s_wait_alu 0xfffe
	v_fma_f64 v[118:119], v[118:119], s[14:15], v[46:47]
	v_fma_f64 v[171:172], v[94:95], s[12:13], v[187:188]
	v_fma_f64 v[173:174], v[94:95], s[14:15], v[50:51]
	v_fma_f64 v[169:170], v[116:117], s[12:13], v[185:186]
	v_fma_f64 v[116:117], v[116:117], s[14:15], v[48:49]
	v_fma_f64 v[94:95], v[6:7], v[215:216], v[199:200]
	v_fma_f64 v[50:51], v[4:5], v[215:216], -v[201:202]
	v_fma_f64 v[175:176], v[126:127], s[12:13], v[189:190]
	v_fma_f64 v[177:178], v[104:105], s[12:13], v[191:192]
	;; [unrolled: 1-line block ×7, first 2 shown]
	v_mul_f64_e32 v[110:111], v[0:1], v[229:230]
	v_fma_f64 v[126:127], v[126:127], s[14:15], v[96:97]
	v_fma_f64 v[179:180], v[130:131], s[12:13], v[197:198]
	;; [unrolled: 1-line block ×3, first 2 shown]
	v_fma_f64 v[48:49], v[16:17], v[219:220], -v[205:206]
	v_fma_f64 v[46:47], v[18:19], v[223:224], -v[209:210]
	v_fma_f64 v[96:97], v[0:1], v[227:228], v[211:212]
	v_add_f64_e32 v[0:1], v[114:115], v[88:89]
	v_add_f64_e32 v[4:5], v[120:121], v[72:73]
	;; [unrolled: 1-line block ×4, first 2 shown]
	v_fma_f64 v[18:19], v[112:113], s[18:19], v[167:168]
	v_fma_f64 v[112:113], v[112:113], s[18:19], v[118:119]
	;; [unrolled: 1-line block ×12, first 2 shown]
	v_fma_f64 v[52:53], v[52:53], v[227:228], -v[110:111]
	v_fma_f64 v[124:125], v[157:158], s[18:19], v[126:127]
	v_fma_f64 v[126:127], v[159:160], s[18:19], v[177:178]
	;; [unrolled: 1-line block ×4, first 2 shown]
	v_and_b32_e32 v98, 0xffff, v150
	v_and_b32_e32 v99, 0xffff, v147
	;; [unrolled: 1-line block ×4, first 2 shown]
	v_lshlrev_b32_e32 v109, 3, v148
	v_mul_u32_u24_e32 v100, 0x1b8, v98
	v_mul_u32_u24_e32 v99, 0x1b8, v99
	v_lshlrev_b32_e32 v110, 3, v149
	v_mul_u32_u24_e32 v101, 0x1b8, v101
	v_mul_u32_u24_e32 v111, 0x1b8, v104
	v_add3_u32 v100, 0, v100, v109
	v_lshlrev_b32_e32 v104, 3, v151
	v_lshlrev_b32_e32 v109, 3, v152
	v_lshl_add_u32 v98, v239, 3, 0
	v_add3_u32 v99, 0, v99, v110
	s_delay_alu instid0(VALU_DEP_4) | instskip(NEXT) | instid1(VALU_DEP_4)
	v_add3_u32 v104, 0, v101, v104
	v_add3_u32 v101, 0, v111, v109
	ds_store_2addr_b64 v100, v[0:1], v[18:19] offset1:11
	ds_store_2addr_b64 v100, v[114:115], v[116:117] offset0:22 offset1:33
	ds_store_b64 v100, v[112:113] offset:352
	ds_store_2addr_b64 v99, v[4:5], v[118:119] offset1:11
	ds_store_2addr_b64 v99, v[122:123], v[124:125] offset0:22 offset1:33
	ds_store_b64 v99, v[120:121] offset:352
	;; [unrolled: 3-line block ×4, first 2 shown]
	s_and_saveexec_b32 s1, s0
	s_cbranch_execz .LBB0_25
; %bb.24:
	v_add_f64_e32 v[4:5], v[90:91], v[92:93]
	v_add_f64_e32 v[0:1], v[94:95], v[96:97]
	v_add_f64_e64 v[6:7], v[50:51], -v[52:53]
	v_add_f64_e32 v[18:19], v[138:139], v[94:95]
	v_add_f64_e64 v[16:17], v[48:49], -v[46:47]
	v_add_f64_e64 v[105:106], v[90:91], -v[94:95]
	;; [unrolled: 1-line block ×5, first 2 shown]
	v_fma_f64 v[4:5], v[4:5], -0.5, v[138:139]
	v_fma_f64 v[0:1], v[0:1], -0.5, v[138:139]
	v_add_f64_e32 v[18:19], v[18:19], v[90:91]
	v_add_f64_e32 v[105:106], v[105:106], v[107:108]
	;; [unrolled: 1-line block ×3, first 2 shown]
	v_fma_f64 v[115:116], v[6:7], s[4:5], v[4:5]
	v_fma_f64 v[113:114], v[16:17], s[4:5], v[0:1]
	;; [unrolled: 1-line block ×4, first 2 shown]
	v_add_f64_e32 v[18:19], v[18:19], v[92:93]
	v_fma_f64 v[111:112], v[16:17], s[12:13], v[115:116]
	v_fma_f64 v[109:110], v[6:7], s[14:15], v[113:114]
	;; [unrolled: 1-line block ×4, first 2 shown]
	v_add_f64_e32 v[6:7], v[18:19], v[96:97]
	v_fma_f64 v[18:19], v[107:108], s[18:19], v[111:112]
	v_fma_f64 v[16:17], v[105:106], s[18:19], v[109:110]
	;; [unrolled: 1-line block ×4, first 2 shown]
	v_add_nc_u32_e32 v105, 0x2000, v98
	ds_store_2addr_b64 v105, v[6:7], v[18:19] offset0:76 offset1:87
	ds_store_2addr_b64 v105, v[0:1], v[16:17] offset0:98 offset1:109
	ds_store_b64 v98, v[4:5] offset:9152
.LBB0_25:
	s_wait_alu 0xfffe
	s_or_b32 exec_lo, exec_lo, s1
	v_add_f64_e32 v[0:1], v[58:59], v[40:41]
	v_add_f64_e32 v[4:5], v[70:71], v[2:3]
	;; [unrolled: 1-line block ×9, first 2 shown]
	v_add_f64_e64 v[62:63], v[62:63], -v[88:89]
	v_add_f64_e64 v[64:65], v[64:65], -v[68:69]
	v_add_f64_e32 v[68:69], v[10:11], v[44:45]
	v_add_f64_e32 v[88:89], v[12:13], v[32:33]
	;; [unrolled: 1-line block ×3, first 2 shown]
	v_add_f64_e64 v[56:57], v[56:57], -v[72:73]
	v_add_f64_e64 v[72:73], v[78:79], -v[84:85]
	;; [unrolled: 1-line block ×6, first 2 shown]
	global_wb scope:SCOPE_SE
	s_wait_dscnt 0x0
	s_barrier_signal -1
	s_barrier_wait -1
	global_inv scope:SCOPE_SE
	v_fma_f64 v[0:1], v[0:1], -0.5, v[8:9]
	v_fma_f64 v[4:5], v[4:5], -0.5, v[8:9]
	;; [unrolled: 1-line block ×3, first 2 shown]
	v_add_f64_e64 v[8:9], v[60:61], -v[66:67]
	v_fma_f64 v[10:11], v[16:17], -0.5, v[10:11]
	v_add_f64_e64 v[60:61], v[80:81], -v[102:103]
	v_fma_f64 v[18:19], v[18:19], -0.5, v[12:13]
	;; [unrolled: 2-line block ×4, first 2 shown]
	v_fma_f64 v[14:15], v[109:110], -0.5, v[14:15]
	v_add_f64_e64 v[76:77], v[70:71], -v[58:59]
	v_add_f64_e64 v[70:71], v[58:59], -v[70:71]
	;; [unrolled: 1-line block ×6, first 2 shown]
	v_add_f64_e32 v[58:59], v[111:112], v[58:59]
	v_add_f64_e32 v[42:43], v[68:69], v[42:43]
	v_add_f64_e32 v[28:29], v[88:89], v[28:29]
	v_add_f64_e64 v[80:81], v[40:41], -v[2:3]
	v_add_f64_e64 v[109:110], v[34:35], -v[30:31]
	;; [unrolled: 1-line block ×3, first 2 shown]
	v_add_f64_e32 v[30:31], v[113:114], v[30:31]
	v_add_f64_e64 v[86:87], v[38:39], -v[36:37]
	v_add_f64_e64 v[105:106], v[24:25], -v[20:21]
	;; [unrolled: 1-line block ×3, first 2 shown]
	v_fma_f64 v[68:69], v[62:63], s[10:11], v[0:1]
	v_fma_f64 v[88:89], v[64:65], s[4:5], v[4:5]
	;; [unrolled: 1-line block ×16, first 2 shown]
	v_add_f64_e32 v[76:77], v[76:77], v[78:79]
	v_add_f64_e32 v[78:79], v[82:83], v[84:85]
	;; [unrolled: 1-line block ×12, first 2 shown]
	v_fma_f64 v[28:29], v[64:65], s[14:15], v[68:69]
	v_fma_f64 v[30:31], v[62:63], s[14:15], v[88:89]
	;; [unrolled: 1-line block ×16, first 2 shown]
	v_add_f64_e32 v[64:65], v[40:41], v[2:3]
	v_add_f64_e32 v[66:67], v[38:39], v[36:37]
	;; [unrolled: 1-line block ×4, first 2 shown]
	v_fma_f64 v[74:75], v[76:77], s[18:19], v[28:29]
	v_fma_f64 v[84:85], v[70:71], s[18:19], v[30:31]
	;; [unrolled: 1-line block ×9, first 2 shown]
	v_lshl_add_u32 v42, v140, 3, 0
	v_fma_f64 v[107:108], v[32:33], s[18:19], v[18:19]
	v_fma_f64 v[109:110], v[32:33], s[18:19], v[12:13]
	v_add_nc_u32_e32 v56, 0xc00, v141
	v_fma_f64 v[80:81], v[80:81], s[18:19], v[16:17]
	v_add_nc_u32_e32 v43, 0x1000, v141
	v_fma_f64 v[111:112], v[82:83], s[18:19], v[58:59]
	v_add_nc_u32_e32 v57, 0x1800, v141
	v_fma_f64 v[60:61], v[34:35], s[18:19], v[60:61]
	v_fma_f64 v[113:114], v[34:35], s[18:19], v[14:15]
	;; [unrolled: 1-line block ×3, first 2 shown]
	ds_load_2addr_b64 v[4:7], v141 offset1:55
	ds_load_2addr_b64 v[0:3], v141 offset0:110 offset1:165
	v_add_nc_u32_e32 v44, 0x400, v141
	v_add_nc_u32_e32 v45, 0x800, v141
	;; [unrolled: 1-line block ×4, first 2 shown]
	ds_load_b64 v[40:41], v42 offset:2640
	ds_load_2addr_b64 v[16:19], v56 offset0:111 offset1:166
	ds_load_2addr_b64 v[12:15], v43 offset0:93 offset1:148
	;; [unrolled: 1-line block ×8, first 2 shown]
	global_wb scope:SCOPE_SE
	s_wait_dscnt 0x0
	s_barrier_signal -1
	s_barrier_wait -1
	global_inv scope:SCOPE_SE
	ds_store_2addr_b64 v100, v[64:65], v[74:75] offset1:11
	ds_store_2addr_b64 v100, v[84:85], v[70:71] offset0:22 offset1:33
	ds_store_b64 v100, v[76:77] offset:352
	ds_store_2addr_b64 v99, v[66:67], v[86:87] offset1:11
	ds_store_2addr_b64 v99, v[88:89], v[102:103] offset0:22 offset1:33
	ds_store_b64 v99, v[78:79] offset:352
	;; [unrolled: 3-line block ×4, first 2 shown]
	s_and_saveexec_b32 s1, s0
	s_cbranch_execz .LBB0_27
; %bb.26:
	v_add_f64_e32 v[60:61], v[48:49], v[46:47]
	v_add_f64_e32 v[62:63], v[50:51], v[52:53]
	;; [unrolled: 1-line block ×3, first 2 shown]
	v_add_f64_e64 v[66:67], v[94:95], -v[96:97]
	v_add_f64_e64 v[68:69], v[90:91], -v[92:93]
	s_mov_b32 s4, 0x134454ff
	s_mov_b32 s5, 0x3fee6f0e
	;; [unrolled: 1-line block ×3, first 2 shown]
	s_wait_alu 0xfffe
	s_mov_b32 s10, s4
	v_add_f64_e64 v[70:71], v[52:53], -v[46:47]
	v_add_f64_e64 v[72:73], v[46:47], -v[52:53]
	v_fma_f64 v[60:61], v[60:61], -0.5, v[54:55]
	v_fma_f64 v[54:55], v[62:63], -0.5, v[54:55]
	v_add_f64_e64 v[62:63], v[50:51], -v[48:49]
	v_add_f64_e64 v[50:51], v[48:49], -v[50:51]
	v_add_f64_e32 v[48:49], v[64:65], v[48:49]
	v_fma_f64 v[64:65], v[66:67], s[4:5], v[60:61]
	s_wait_alu 0xfffe
	v_fma_f64 v[74:75], v[68:69], s[10:11], v[54:55]
	v_fma_f64 v[54:55], v[68:69], s[4:5], v[54:55]
	;; [unrolled: 1-line block ×3, first 2 shown]
	s_mov_b32 s4, 0x4755a5e
	s_mov_b32 s5, 0x3fe2cf23
	;; [unrolled: 1-line block ×3, first 2 shown]
	s_wait_alu 0xfffe
	s_mov_b32 s10, s4
	v_add_f64_e32 v[62:63], v[62:63], v[70:71]
	v_add_f64_e32 v[46:47], v[48:49], v[46:47]
	;; [unrolled: 1-line block ×3, first 2 shown]
	v_fma_f64 v[48:49], v[68:69], s[4:5], v[64:65]
	v_fma_f64 v[64:65], v[66:67], s[4:5], v[74:75]
	s_wait_alu 0xfffe
	v_fma_f64 v[54:55], v[66:67], s[10:11], v[54:55]
	v_fma_f64 v[60:61], v[68:69], s[10:11], v[60:61]
	s_mov_b32 s4, 0x372fe950
	s_mov_b32 s5, 0x3fd3c6ef
	v_add_f64_e32 v[46:47], v[46:47], v[52:53]
	s_wait_alu 0xfffe
	v_fma_f64 v[48:49], v[62:63], s[4:5], v[48:49]
	v_fma_f64 v[52:53], v[50:51], s[4:5], v[64:65]
	;; [unrolled: 1-line block ×4, first 2 shown]
	v_add_nc_u32_e32 v60, 0x2000, v98
	ds_store_2addr_b64 v60, v[46:47], v[48:49] offset0:76 offset1:87
	ds_store_2addr_b64 v60, v[52:53], v[50:51] offset0:98 offset1:109
	ds_store_b64 v98, v[54:55] offset:9152
.LBB0_27:
	s_wait_alu 0xfffe
	s_or_b32 exec_lo, exec_lo, s1
	v_mul_lo_u16 v46, 0x95, v146
	v_mul_u32_u24_e32 v47, 6, v140
	global_wb scope:SCOPE_SE
	s_wait_dscnt 0x0
	s_barrier_signal -1
	s_barrier_wait -1
	v_lshrrev_b16 v46, 13, v46
	v_lshlrev_b32_e32 v55, 4, v47
	global_inv scope:SCOPE_SE
	s_mov_b32 s4, 0x37e14327
	s_mov_b32 s0, 0x36b3c0b5
	v_mul_lo_u16 v46, v46, 55
	s_clause 0x3
	global_load_b128 v[47:50], v55, s[8:9] offset:720
	global_load_b128 v[51:54], v55, s[8:9] offset:704
	;; [unrolled: 1-line block ×4, first 2 shown]
	s_mov_b32 s10, 0xe976ee23
	s_mov_b32 s12, 0x429ad128
	v_sub_nc_u16 v46, v143, v46
	s_mov_b32 s5, 0x3fe948f6
	s_mov_b32 s1, 0x3fac98ee
	;; [unrolled: 1-line block ×4, first 2 shown]
	v_and_b32_e32 v46, 0xff, v46
	s_mov_b32 s18, 0xaaaaaaaa
	s_mov_b32 s22, 0x5476071b
	s_mov_b32 s26, 0xb247c609
	s_mov_b32 s19, 0xbff2aaaa
	v_mul_u32_u24_e32 v68, 6, v46
	s_mov_b32 s23, 0x3fe77f67
	s_mov_b32 s21, 0xbfe77f67
	;; [unrolled: 1-line block ×4, first 2 shown]
	v_lshlrev_b32_e32 v96, 4, v68
	s_wait_alu 0xfffe
	s_mov_b32 s20, s22
	s_mov_b32 s24, s26
	;; [unrolled: 1-line block ×4, first 2 shown]
	s_clause 0x7
	global_load_b128 v[68:71], v96, s[8:9] offset:704
	global_load_b128 v[72:75], v96, s[8:9] offset:720
	;; [unrolled: 1-line block ×8, first 2 shown]
	ds_load_2addr_b64 v[100:103], v141 offset0:110 offset1:165
	ds_load_b64 v[132:133], v42 offset:2640
	ds_load_2addr_b64 v[104:107], v57 offset0:167 offset1:222
	ds_load_2addr_b64 v[108:111], v57 offset0:57 offset1:112
	;; [unrolled: 1-line block ×8, first 2 shown]
	ds_load_2addr_b64 v[150:153], v141 offset1:55
	v_lshl_add_u32 v55, v46, 3, 0
	global_wb scope:SCOPE_SE
	s_wait_loadcnt_dscnt 0x0
	s_barrier_signal -1
	s_barrier_wait -1
	global_inv scope:SCOPE_SE
	v_mul_f64_e32 v[154:155], v[132:133], v[49:50]
	v_mul_f64_e32 v[138:139], v[102:103], v[53:54]
	;; [unrolled: 1-line block ×32, first 2 shown]
	v_fma_f64 v[40:41], v[40:41], v[47:48], v[154:155]
	v_fma_f64 v[2:3], v[2:3], v[51:52], v[138:139]
	;; [unrolled: 1-line block ×8, first 2 shown]
	v_mul_f64_e32 v[138:139], v[128:129], v[94:95]
	v_mul_f64_e32 v[94:95], v[12:13], v[94:95]
	;; [unrolled: 1-line block ×4, first 2 shown]
	v_fma_f64 v[102:103], v[102:103], v[51:52], -v[176:177]
	v_fma_f64 v[132:133], v[132:133], v[47:48], -v[178:179]
	;; [unrolled: 1-line block ×6, first 2 shown]
	v_fma_f64 v[26:27], v[26:27], v[68:69], v[168:169]
	v_fma_f64 v[30:31], v[30:31], v[72:73], v[170:171]
	;; [unrolled: 1-line block ×4, first 2 shown]
	v_fma_f64 v[49:50], v[110:111], v[64:65], -v[66:67]
	v_fma_f64 v[53:54], v[120:121], v[60:61], -v[62:63]
	v_fma_f64 v[60:61], v[114:115], v[68:69], -v[70:71]
	v_fma_f64 v[62:63], v[118:119], v[72:73], -v[74:75]
	v_fma_f64 v[64:65], v[122:123], v[76:77], -v[78:79]
	v_fma_f64 v[66:67], v[104:105], v[80:81], -v[82:83]
	v_fma_f64 v[16:17], v[16:17], v[84:85], v[184:185]
	v_fma_f64 v[124:125], v[124:125], v[84:85], -v[186:187]
	v_fma_f64 v[14:15], v[14:15], v[88:89], v[188:189]
	v_fma_f64 v[130:131], v[130:131], v[88:89], -v[190:191]
	;; [unrolled: 2-line block ×4, first 2 shown]
	v_add_f64_e32 v[70:71], v[2:3], v[22:23]
	v_add_f64_e32 v[72:73], v[40:41], v[32:33]
	v_add_f64_e64 v[2:3], v[2:3], -v[22:23]
	v_add_f64_e64 v[32:33], v[40:41], -v[32:33]
	v_add_f64_e32 v[78:79], v[24:25], v[36:37]
	v_add_f64_e32 v[80:81], v[28:29], v[34:35]
	v_fma_f64 v[12:13], v[12:13], v[92:93], v[138:139]
	v_fma_f64 v[76:77], v[128:129], v[92:93], -v[94:95]
	v_fma_f64 v[10:11], v[10:11], v[96:97], v[154:155]
	v_fma_f64 v[82:83], v[148:149], v[96:97], -v[98:99]
	v_add_f64_e64 v[28:29], v[28:29], -v[34:35]
	v_add_f64_e32 v[90:91], v[132:133], v[108:109]
	v_add_f64_e32 v[88:89], v[102:103], v[106:107]
	v_add_f64_e64 v[22:23], v[102:103], -v[106:107]
	v_add_f64_e64 v[40:41], v[132:133], -v[108:109]
	v_add_f64_e32 v[84:85], v[26:27], v[38:39]
	v_add_f64_e32 v[86:87], v[30:31], v[20:21]
	;; [unrolled: 1-line block ×4, first 2 shown]
	v_add_f64_e64 v[47:48], v[47:48], -v[49:50]
	v_add_f64_e64 v[51:52], v[51:52], -v[53:54]
	v_add_f64_e32 v[102:103], v[60:61], v[64:65]
	v_add_f64_e32 v[104:105], v[62:63], v[66:67]
	v_add_f64_e64 v[62:63], v[62:63], -v[66:67]
	v_add_f64_e64 v[34:35], v[60:61], -v[64:65]
	v_add_f64_e32 v[92:93], v[16:17], v[14:15]
	v_add_f64_e32 v[94:95], v[124:125], v[130:131]
	v_add_f64_e64 v[14:15], v[14:15], -v[16:17]
	v_add_f64_e64 v[16:17], v[130:131], -v[124:125]
	v_add_f64_e32 v[108:109], v[18:19], v[8:9]
	v_add_f64_e64 v[49:50], v[74:75], -v[68:69]
	v_add_f64_e32 v[53:54], v[68:69], v[74:75]
	v_add_f64_e64 v[20:21], v[30:31], -v[20:21]
	v_add_f64_e64 v[8:9], v[8:9], -v[18:19]
	;; [unrolled: 1-line block ×4, first 2 shown]
	v_add_f64_e32 v[106:107], v[72:73], v[70:71]
	v_add_f64_e64 v[30:31], v[72:73], -v[70:71]
	v_add_f64_e32 v[68:69], v[80:81], v[78:79]
	v_add_f64_e64 v[114:115], v[80:81], -v[78:79]
	;; [unrolled: 2-line block ×3, first 2 shown]
	v_add_f64_e64 v[10:11], v[10:11], -v[12:13]
	v_add_f64_e32 v[26:27], v[76:77], v[82:83]
	v_add_f64_e32 v[12:13], v[90:91], v[88:89]
	v_add_f64_e64 v[36:37], v[90:91], -v[88:89]
	v_add_f64_e32 v[60:61], v[86:87], v[84:85]
	v_add_f64_e32 v[110:111], v[98:99], v[96:97]
	v_add_f64_e64 v[116:117], v[98:99], -v[96:97]
	v_add_f64_e64 v[118:119], v[47:48], -v[51:52]
	v_add_f64_e32 v[112:113], v[104:105], v[102:103]
	v_add_f64_e64 v[122:123], v[62:63], -v[34:35]
	v_add_f64_e64 v[38:39], v[70:71], -v[92:93]
	;; [unrolled: 1-line block ×4, first 2 shown]
	v_add_f64_e32 v[82:83], v[16:17], v[40:41]
	v_add_f64_e64 v[90:91], v[16:17], -v[40:41]
	v_add_f64_e64 v[40:41], v[40:41], -v[22:23]
	v_add_f64_e32 v[76:77], v[14:15], v[32:33]
	v_add_f64_e64 v[78:79], v[78:79], -v[108:109]
	v_add_f64_e64 v[80:81], v[108:109], -v[80:81]
	v_add_f64_e64 v[64:65], v[88:89], -v[94:95]
	v_add_f64_e64 v[88:89], v[14:15], -v[32:33]
	v_add_f64_e32 v[92:93], v[92:93], v[106:107]
	v_add_f64_e64 v[106:107], v[49:50], -v[47:48]
	v_add_f64_e64 v[32:33], v[32:33], -v[2:3]
	;; [unrolled: 1-line block ×3, first 2 shown]
	v_add_f64_e32 v[68:69], v[108:109], v[68:69]
	v_add_f64_e64 v[98:99], v[53:54], -v[98:99]
	v_add_f64_e32 v[124:125], v[8:9], v[28:29]
	v_add_f64_e64 v[108:109], v[84:85], -v[66:67]
	v_add_f64_e64 v[120:121], v[74:75], -v[62:63]
	v_add_f64_e32 v[128:129], v[10:11], v[20:21]
	v_add_f64_e64 v[130:131], v[10:11], -v[20:21]
	v_add_f64_e32 v[47:48], v[49:50], v[47:48]
	v_add_f64_e32 v[12:13], v[94:95], v[12:13]
	v_add_f64_e64 v[126:127], v[8:9], -v[28:29]
	v_add_f64_e64 v[28:29], v[28:29], -v[18:19]
	;; [unrolled: 1-line block ×4, first 2 shown]
	v_add_f64_e32 v[62:63], v[74:75], v[62:63]
	v_add_f64_e32 v[60:61], v[66:67], v[60:61]
	v_add_f64_e64 v[66:67], v[66:67], -v[86:87]
	v_add_f64_e32 v[53:54], v[53:54], v[110:111]
	v_add_f64_e64 v[86:87], v[104:105], -v[102:103]
	v_add_f64_e64 v[102:103], v[102:103], -v[26:27]
	;; [unrolled: 1-line block ×3, first 2 shown]
	v_add_f64_e32 v[26:27], v[26:27], v[112:113]
	v_add_f64_e64 v[16:17], v[22:23], -v[16:17]
	v_add_f64_e64 v[14:15], v[2:3], -v[14:15]
	v_mul_f64_e32 v[38:39], s[4:5], v[38:39]
	v_mul_f64_e32 v[94:95], s[0:1], v[70:71]
	v_add_f64_e64 v[49:50], v[51:52], -v[49:50]
	v_add_f64_e64 v[74:75], v[34:35], -v[74:75]
	v_mul_f64_e32 v[90:91], s[10:11], v[90:91]
	v_mul_f64_e32 v[110:111], s[12:13], v[40:41]
	v_add_f64_e32 v[2:3], v[76:77], v[2:3]
	v_mul_f64_e32 v[78:79], s[4:5], v[78:79]
	v_mul_f64_e32 v[76:77], s[12:13], v[118:119]
	v_mul_f64_e32 v[112:113], s[0:1], v[80:81]
	v_add_f64_e32 v[22:23], v[82:83], v[22:23]
	v_add_f64_e32 v[4:5], v[4:5], v[92:93]
	v_mul_f64_e32 v[106:107], s[10:11], v[106:107]
	v_mul_f64_e32 v[132:133], s[12:13], v[122:123]
	;; [unrolled: 1-line block ×3, first 2 shown]
	v_add_f64_e32 v[6:7], v[6:7], v[68:69]
	v_add_f64_e64 v[10:11], v[24:25], -v[10:11]
	v_mul_f64_e32 v[88:89], s[10:11], v[88:89]
	v_mul_f64_e32 v[82:83], s[4:5], v[108:109]
	;; [unrolled: 1-line block ×4, first 2 shown]
	v_add_f64_e32 v[24:25], v[128:129], v[24:25]
	v_mul_f64_e32 v[128:129], s[10:11], v[130:131]
	v_add_f64_e32 v[130:131], v[150:151], v[12:13]
	v_mul_f64_e32 v[146:147], s[12:13], v[32:33]
	v_add_f64_e64 v[8:9], v[18:19], -v[8:9]
	v_add_f64_e32 v[18:19], v[124:125], v[18:19]
	v_add_f64_e32 v[47:48], v[47:48], v[51:52]
	v_mul_f64_e32 v[51:52], s[4:5], v[96:97]
	v_add_f64_e32 v[0:1], v[0:1], v[60:61]
	v_mul_f64_e32 v[138:139], s[0:1], v[66:67]
	v_mul_f64_e32 v[124:125], s[10:11], v[126:127]
	;; [unrolled: 1-line block ×4, first 2 shown]
	v_add_f64_e32 v[150:151], v[152:153], v[53:54]
	v_mul_f64_e32 v[96:97], s[0:1], v[98:99]
	v_add_f64_e32 v[34:35], v[62:63], v[34:35]
	v_mul_f64_e32 v[62:63], s[4:5], v[102:103]
	;; [unrolled: 2-line block ×3, first 2 shown]
	v_fma_f64 v[70:71], v[70:71], s[0:1], v[38:39]
	v_fma_f64 v[94:95], v[30:31], s[22:23], -v[94:95]
	s_wait_alu 0xfffe
	v_fma_f64 v[30:31], v[30:31], s[20:21], -v[38:39]
	v_fma_f64 v[38:39], v[16:17], s[26:27], v[90:91]
	v_fma_f64 v[40:41], v[40:41], s[12:13], -v[90:91]
	v_fma_f64 v[16:17], v[16:17], s[24:25], -v[110:111]
	v_fma_f64 v[80:81], v[80:81], s[0:1], v[78:79]
	v_fma_f64 v[90:91], v[92:93], s[18:19], v[4:5]
	;; [unrolled: 1-line block ×3, first 2 shown]
	v_fma_f64 v[106:107], v[118:119], s[12:13], -v[106:107]
	v_fma_f64 v[49:50], v[49:50], s[24:25], -v[76:77]
	v_fma_f64 v[68:69], v[68:69], s[18:19], v[6:7]
	v_fma_f64 v[76:77], v[114:115], s[20:21], -v[78:79]
	v_fma_f64 v[92:93], v[114:115], s[22:23], -v[112:113]
	v_fma_f64 v[66:67], v[66:67], s[0:1], v[82:83]
	v_fma_f64 v[78:79], v[74:75], s[26:27], v[108:109]
	v_fma_f64 v[108:109], v[122:123], s[12:13], -v[108:109]
	v_fma_f64 v[74:75], v[74:75], s[24:25], -v[132:133]
	;; [unrolled: 1-line block ×3, first 2 shown]
	v_fma_f64 v[72:73], v[72:73], s[0:1], v[64:65]
	v_fma_f64 v[112:113], v[36:37], s[22:23], -v[120:121]
	v_fma_f64 v[36:37], v[36:37], s[20:21], -v[64:65]
	v_fma_f64 v[64:65], v[14:15], s[26:27], v[88:89]
	v_fma_f64 v[12:13], v[12:13], s[18:19], v[130:131]
	v_fma_f64 v[32:33], v[32:33], s[12:13], -v[88:89]
	v_fma_f64 v[60:61], v[60:61], s[18:19], v[0:1]
	v_fma_f64 v[84:85], v[84:85], s[22:23], -v[138:139]
	v_fma_f64 v[14:15], v[14:15], s[24:25], -v[146:147]
	v_fma_f64 v[88:89], v[98:99], s[0:1], v[51:52]
	v_fma_f64 v[51:52], v[116:117], s[20:21], -v[51:52]
	v_fma_f64 v[98:99], v[8:9], s[26:27], v[124:125]
	v_fma_f64 v[28:29], v[28:29], s[12:13], -v[124:125]
	v_fma_f64 v[8:9], v[8:9], s[24:25], -v[126:127]
	v_fma_f64 v[114:115], v[10:11], s[26:27], v[128:129]
	v_fma_f64 v[20:21], v[20:21], s[12:13], -v[128:129]
	;; [unrolled: 3-line block ×3, first 2 shown]
	v_fma_f64 v[104:105], v[104:105], s[0:1], v[62:63]
	v_fma_f64 v[26:27], v[26:27], s[18:19], v[100:101]
	v_fma_f64 v[102:103], v[86:87], s[22:23], -v[102:103]
	v_fma_f64 v[62:63], v[86:87], s[20:21], -v[62:63]
	v_fma_f64 v[38:39], v[22:23], s[14:15], v[38:39]
	v_fma_f64 v[40:41], v[22:23], s[14:15], v[40:41]
	;; [unrolled: 1-line block ×3, first 2 shown]
	v_add_f64_e32 v[22:23], v[70:71], v[90:91]
	v_add_f64_e32 v[30:31], v[30:31], v[90:91]
	;; [unrolled: 1-line block ×3, first 2 shown]
	v_fma_f64 v[86:87], v[47:48], s[14:15], v[110:111]
	v_fma_f64 v[90:91], v[47:48], s[14:15], v[106:107]
	;; [unrolled: 1-line block ×3, first 2 shown]
	v_add_f64_e32 v[49:50], v[80:81], v[68:69]
	v_add_f64_e32 v[76:77], v[76:77], v[68:69]
	;; [unrolled: 1-line block ×3, first 2 shown]
	v_fma_f64 v[78:79], v[34:35], s[14:15], v[78:79]
	v_fma_f64 v[80:81], v[34:35], s[14:15], v[108:109]
	;; [unrolled: 1-line block ×3, first 2 shown]
	v_add_nc_u32_e32 v116, 0x1800, v55
	v_add_nc_u32_e32 v117, 0x1c00, v55
	v_fma_f64 v[64:65], v[2:3], s[14:15], v[64:65]
	v_add_f64_e32 v[72:73], v[72:73], v[12:13]
	v_fma_f64 v[32:33], v[2:3], s[14:15], v[32:33]
	v_add_f64_e32 v[66:67], v[66:67], v[60:61]
	v_add_f64_e32 v[74:75], v[82:83], v[60:61]
	;; [unrolled: 1-line block ×3, first 2 shown]
	v_fma_f64 v[2:3], v[2:3], s[14:15], v[14:15]
	v_add_f64_e32 v[36:37], v[36:37], v[12:13]
	v_add_f64_e32 v[12:13], v[112:113], v[12:13]
	v_fma_f64 v[14:15], v[18:19], s[14:15], v[98:99]
	v_fma_f64 v[28:29], v[18:19], s[14:15], v[28:29]
	;; [unrolled: 1-line block ×6, first 2 shown]
	v_add_f64_e32 v[24:25], v[88:89], v[53:54]
	v_add_f64_e32 v[51:52], v[51:52], v[53:54]
	;; [unrolled: 1-line block ×6, first 2 shown]
	v_add_nc_u32_e32 v104, 0x400, v42
	v_add_f64_e32 v[62:63], v[38:39], v[22:23]
	v_add_f64_e32 v[88:89], v[16:17], v[30:31]
	v_add_f64_e64 v[92:93], v[70:71], -v[40:41]
	v_add_f64_e32 v[40:41], v[40:41], v[70:71]
	v_add_f64_e64 v[16:17], v[30:31], -v[16:17]
	v_add_f64_e64 v[22:23], v[22:23], -v[38:39]
	v_add_f64_e32 v[30:31], v[86:87], v[49:50]
	v_add_f64_e32 v[38:39], v[47:48], v[76:77]
	v_add_f64_e64 v[70:71], v[68:69], -v[90:91]
	v_add_f64_e32 v[68:69], v[90:91], v[68:69]
	v_add_f64_e64 v[46:47], v[76:77], -v[47:48]
	v_add_f64_e64 v[48:49], v[49:50], -v[86:87]
	;; [unrolled: 6-line block ×3, first 2 shown]
	v_add_f64_e64 v[74:75], v[72:73], -v[64:65]
	v_add_f64_e64 v[78:79], v[36:37], -v[2:3]
	v_add_f64_e32 v[80:81], v[32:33], v[12:13]
	v_add_f64_e64 v[94:95], v[12:13], -v[32:33]
	v_add_f64_e32 v[96:97], v[2:3], v[36:37]
	v_add_f64_e32 v[64:65], v[64:65], v[72:73]
	v_add_f64_e64 v[72:73], v[24:25], -v[14:15]
	v_add_f64_e64 v[98:99], v[51:52], -v[8:9]
	v_add_f64_e32 v[102:103], v[28:29], v[82:83]
	v_add_f64_e64 v[82:83], v[82:83], -v[28:29]
	v_add_f64_e32 v[50:51], v[8:9], v[51:52]
	v_add_f64_e32 v[106:107], v[14:15], v[24:25]
	;; [unrolled: 6-line block ×3, first 2 shown]
	ds_store_2addr_b64 v141, v[4:5], v[62:63] offset1:55
	ds_store_2addr_b64 v141, v[88:89], v[92:93] offset0:110 offset1:165
	ds_store_2addr_b64 v44, v[40:41], v[16:17] offset0:92 offset1:147
	;; [unrolled: 1-line block ×9, first 2 shown]
	ds_store_b64 v55, v[66:67] offset:8800
	global_wb scope:SCOPE_SE
	s_wait_dscnt 0x0
	s_barrier_signal -1
	s_barrier_wait -1
	global_inv scope:SCOPE_SE
	ds_load_2addr_b64 v[8:11], v141 offset1:55
	ds_load_2addr_b64 v[32:35], v45 offset0:129 offset1:184
	ds_load_2addr_b64 v[36:39], v59 offset0:75 offset1:130
	;; [unrolled: 1-line block ×9, first 2 shown]
	ds_load_b64 v[104:105], v42 offset:2640
	global_wb scope:SCOPE_SE
	s_wait_dscnt 0x0
	s_barrier_signal -1
	s_barrier_wait -1
	global_inv scope:SCOPE_SE
	ds_store_2addr_b64 v141, v[130:131], v[74:75] offset1:55
	ds_store_2addr_b64 v141, v[78:79], v[80:81] offset0:110 offset1:165
	ds_store_2addr_b64 v44, v[94:95], v[96:97] offset0:92 offset1:147
	;; [unrolled: 1-line block ×9, first 2 shown]
	ds_store_b64 v55, v[52:53] offset:8800
	global_wb scope:SCOPE_SE
	s_wait_dscnt 0x0
	s_barrier_signal -1
	s_barrier_wait -1
	global_inv scope:SCOPE_SE
	s_and_saveexec_b32 s0, vcc_lo
	s_cbranch_execz .LBB0_29
; %bb.28:
	v_add_nc_u32_e32 v149, 0x6e, v140
	v_add_nc_u32_e32 v150, 0xa5, v140
	v_mov_b32_e32 v44, 0
	v_lshlrev_b32_e32 v40, 1, v140
	v_add_nc_u32_e32 v153, 0x14a, v140
	v_mul_hi_u32 v155, 0x551c979b, v149
	v_mul_hi_u32 v156, 0x551c979b, v150
	v_mov_b32_e32 v41, v44
	v_add_nc_u32_e32 v43, 0x294, v40
	v_mul_hi_u32 v157, 0x551c979b, v153
	v_mul_lo_u32 v146, s3, v136
	v_mul_lo_u32 v147, s2, v137
	v_add_nc_u32_e32 v152, 0x113, v140
	v_lshrrev_b32_e32 v155, 7, v155
	v_lshrrev_b32_e32 v156, 7, v156
	v_lshlrev_b64_e32 v[45:46], 4, v[43:44]
	v_add_nc_u32_e32 v43, 0x226, v40
	v_lshlrev_b64_e32 v[40:41], 4, v[40:41]
	v_mul_u32_u24_e32 v159, 0x181, v155
	v_mul_u32_u24_e32 v160, 0x181, v156
	v_lshrrev_b32_e32 v157, 7, v157
	v_lshlrev_b64_e32 v[47:48], 4, v[43:44]
	v_lshlrev_b32_e32 v43, 1, v145
	v_sub_nc_u32_e32 v149, v149, v159
	v_sub_nc_u32_e32 v150, v150, v160
	v_add_co_u32 v45, vcc_lo, s8, v45
	s_delay_alu instid0(VALU_DEP_4) | instskip(NEXT) | instid1(VALU_DEP_4)
	v_lshlrev_b64_e32 v[49:50], 4, v[43:44]
	v_mad_u32_u24 v187, 0x483, v155, v149
	s_delay_alu instid0(VALU_DEP_4)
	v_mad_u32_u24 v188, 0x483, v156, v150
	s_wait_alu 0xfffd
	v_add_co_ci_u32_e32 v46, vcc_lo, s9, v46, vcc_lo
	v_add_co_u32 v52, vcc_lo, s8, v47
	v_add_nc_u32_e32 v195, 0x302, v187
	v_add_nc_u32_e32 v197, 0x302, v188
	s_wait_alu 0xfffd
	v_add_co_ci_u32_e32 v53, vcc_lo, s9, v48, vcc_lo
	v_add_co_u32 v56, vcc_lo, s8, v49
	v_mad_co_u64_u32 v[165:166], null, s16, v195, 0
	v_lshlrev_b32_e32 v43, 1, v144
	v_mad_co_u64_u32 v[169:170], null, s16, v197, 0
	s_wait_alu 0xfffd
	v_add_co_ci_u32_e32 v57, vcc_lo, s9, v50, vcc_lo
	s_delay_alu instid0(VALU_DEP_3)
	v_lshlrev_b64_e32 v[68:69], 4, v[43:44]
	v_lshlrev_b32_e32 v43, 1, v143
	s_clause 0x3
	global_load_b128 v[64:67], v[45:46], off offset:6000
	global_load_b128 v[88:91], v[45:46], off offset:5984
	;; [unrolled: 1-line block ×4, first 2 shown]
	v_add_co_u32 v40, vcc_lo, s8, v40
	s_wait_alu 0xfffd
	v_add_co_ci_u32_e32 v41, vcc_lo, s9, v41, vcc_lo
	v_lshlrev_b64_e32 v[45:46], 4, v[43:44]
	v_lshlrev_b32_e32 v43, 1, v142
	v_add_co_u32 v68, vcc_lo, s8, v68
	s_wait_alu 0xfffd
	v_add_co_ci_u32_e32 v69, vcc_lo, s9, v69, vcc_lo
	s_delay_alu instid0(VALU_DEP_3)
	v_lshlrev_b64_e32 v[43:44], 4, v[43:44]
	s_clause 0x3
	global_load_b128 v[52:55], v[56:57], off offset:6000
	global_load_b128 v[56:59], v[56:57], off offset:5984
	;; [unrolled: 1-line block ×4, first 2 shown]
	v_add_co_u32 v40, vcc_lo, s8, v45
	s_wait_alu 0xfffd
	v_add_co_ci_u32_e32 v41, vcc_lo, s9, v46, vcc_lo
	v_add_co_u32 v43, vcc_lo, s8, v43
	s_wait_alu 0xfffd
	v_add_co_ci_u32_e32 v44, vcc_lo, s9, v44, vcc_lo
	s_clause 0x5
	global_load_b128 v[72:75], v[68:69], off offset:5984
	global_load_b128 v[68:71], v[68:69], off offset:6000
	global_load_b128 v[80:83], v[40:41], off offset:5984
	global_load_b128 v[76:79], v[40:41], off offset:6000
	global_load_b128 v[96:99], v[43:44], off offset:5984
	global_load_b128 v[92:95], v[43:44], off offset:6000
	v_mul_u32_u24_e32 v163, 0x181, v157
	v_mad_co_u64_u32 v[142:143], null, s2, v136, 0
	ds_load_b64 v[106:107], v42 offset:2640
	v_add_nc_u32_e32 v108, 0x1400, v141
	v_sub_nc_u32_e32 v153, v153, v163
	v_add_nc_u32_e32 v112, 0x2000, v141
	v_add_nc_u32_e32 v116, 0x400, v42
	;; [unrolled: 1-line block ×3, first 2 shown]
	v_add3_u32 v143, v143, v147, v146
	v_mad_u32_u24 v191, 0x483, v157, v153
	v_mul_hi_u32 v147, 0x551c979b, v152
	ds_load_2addr_b64 v[40:43], v141 offset0:110 offset1:165
	ds_load_2addr_b64 v[44:47], v141 offset1:55
	v_add_nc_u32_e32 v136, 0x800, v141
	v_add_nc_u32_e32 v203, 0x302, v191
	v_mad_co_u64_u32 v[156:157], null, s16, v191, 0
	v_add_nc_u32_e32 v148, 55, v140
	v_lshrrev_b32_e32 v147, 7, v147
	s_delay_alu instid0(VALU_DEP_4) | instskip(SKIP_1) | instid1(VALU_DEP_4)
	v_mad_co_u64_u32 v[181:182], null, s16, v203, 0
	v_add_nc_u32_e32 v151, 0xdc, v140
	v_mul_hi_u32 v154, 0x551c979b, v148
	s_delay_alu instid0(VALU_DEP_4)
	v_mul_u32_u24_e32 v162, 0x181, v147
	v_lshlrev_b64_e32 v[144:145], 4, v[134:135]
	s_mov_b32 s0, 0xe8584caa
	v_mul_hi_u32 v146, 0x551c979b, v151
	s_mov_b32 s1, 0xbfebb67a
	v_sub_nc_u32_e32 v152, v152, v162
	s_mov_b32 s3, 0x3febb67a
	v_lshrrev_b32_e32 v154, 7, v154
	s_wait_alu 0xfffe
	s_mov_b32 s2, s0
	v_mad_u32_u24 v190, 0x483, v147, v152
	v_lshrrev_b32_e32 v146, 7, v146
	s_delay_alu instid0(VALU_DEP_2) | instskip(NEXT) | instid1(VALU_DEP_2)
	v_add_nc_u32_e32 v201, 0x302, v190
	v_mul_u32_u24_e32 v161, 0x181, v146
	s_delay_alu instid0(VALU_DEP_1) | instskip(NEXT) | instid1(VALU_DEP_1)
	v_sub_nc_u32_e32 v151, v151, v161
	v_mad_u32_u24 v189, 0x483, v146, v151
	v_mad_co_u64_u32 v[150:151], null, s16, v188, 0
	v_add_nc_u32_e32 v132, 0x1800, v141
	s_delay_alu instid0(VALU_DEP_3) | instskip(SKIP_3) | instid1(VALU_DEP_2)
	v_mad_co_u64_u32 v[152:153], null, s16, v189, 0
	v_add_nc_u32_e32 v128, 0xc00, v141
	v_mul_hi_u32 v141, 0x551c979b, v140
	v_add_nc_u32_e32 v199, 0x302, v189
	v_lshrrev_b32_e32 v141, 7, v141
	s_delay_alu instid0(VALU_DEP_1) | instskip(SKIP_2) | instid1(VALU_DEP_3)
	v_mul_u32_u24_e32 v158, 0x181, v141
	v_lshlrev_b64_e32 v[141:142], 4, v[142:143]
	v_mul_u32_u24_e32 v143, 0x181, v154
	v_sub_nc_u32_e32 v158, v140, v158
	s_delay_alu instid0(VALU_DEP_3) | instskip(SKIP_1) | instid1(VALU_DEP_4)
	v_add_co_u32 v164, vcc_lo, s6, v141
	s_wait_alu 0xfffd
	v_add_co_ci_u32_e32 v142, vcc_lo, s7, v142, vcc_lo
	s_delay_alu instid0(VALU_DEP_3)
	v_add_nc_u32_e32 v183, 0x181, v158
	v_add_nc_u32_e32 v185, 0x302, v158
	v_sub_nc_u32_e32 v148, v148, v143
	v_add_co_u32 v211, vcc_lo, v164, v144
	v_mad_co_u64_u32 v[140:141], null, s16, v158, 0
	s_wait_alu 0xfffd
	v_add_co_ci_u32_e32 v212, vcc_lo, v142, v145, vcc_lo
	v_mad_co_u64_u32 v[142:143], null, s16, v183, 0
	v_mad_co_u64_u32 v[144:145], null, s16, v185, 0
	v_mad_u32_u24 v186, 0x483, v154, v148
	v_mad_co_u64_u32 v[148:149], null, s16, v187, 0
	v_mad_co_u64_u32 v[154:155], null, s16, v190, 0
	s_delay_alu instid0(VALU_DEP_3)
	v_mad_co_u64_u32 v[146:147], null, s16, v186, 0
	v_mad_co_u64_u32 v[158:159], null, s17, v158, v[141:142]
	v_mov_b32_e32 v141, v143
	v_mov_b32_e32 v143, v145
	;; [unrolled: 1-line block ×5, first 2 shown]
	v_mad_co_u64_u32 v[183:184], null, s17, v183, v[141:142]
	v_add_nc_u32_e32 v200, 0x181, v190
	v_mad_co_u64_u32 v[184:185], null, s17, v185, v[143:144]
	v_dual_mov_b32 v143, v147 :: v_dual_add_nc_u32 v202, 0x181, v191
	v_mov_b32_e32 v141, v158
	v_add_nc_u32_e32 v193, 0x302, v186
	v_mov_b32_e32 v147, v151
	s_delay_alu instid0(VALU_DEP_4)
	v_mad_co_u64_u32 v[157:158], null, s17, v186, v[143:144]
	v_mov_b32_e32 v143, v183
	v_mad_co_u64_u32 v[175:176], null, s16, v200, 0
	v_add_nc_u32_e32 v196, 0x181, v188
	v_mad_co_u64_u32 v[161:162], null, s16, v193, 0
	v_mov_b32_e32 v151, v155
	ds_load_2addr_b64 v[108:111], v108 offset0:75 offset1:130
	ds_load_2addr_b64 v[112:115], v112 offset0:21 offset1:76
	;; [unrolled: 1-line block ×8, first 2 shown]
	v_mad_co_u64_u32 v[167:168], null, s16, v196, 0
	v_add_nc_u32_e32 v192, 0x181, v186
	v_mad_co_u64_u32 v[185:186], null, s17, v187, v[145:146]
	v_mov_b32_e32 v145, v184
	v_mad_co_u64_u32 v[179:180], null, s16, v202, 0
	v_add_nc_u32_e32 v198, 0x181, v189
	v_mov_b32_e32 v158, v162
	v_mov_b32_e32 v162, v166
	v_lshlrev_b64_e32 v[140:141], 4, v[140:141]
	v_lshlrev_b64_e32 v[142:143], 4, v[142:143]
	v_mad_co_u64_u32 v[171:172], null, s16, v198, 0
	v_add_nc_u32_e32 v194, 0x181, v187
	v_mad_co_u64_u32 v[186:187], null, s17, v188, v[147:148]
	v_mov_b32_e32 v147, v168
	v_mad_co_u64_u32 v[159:160], null, s16, v192, 0
	v_mad_co_u64_u32 v[187:188], null, s17, v189, v[149:150]
	v_mov_b32_e32 v149, v172
	v_mad_co_u64_u32 v[163:164], null, s16, v194, 0
	;; [unrolled: 3-line block ×3, first 2 shown]
	s_delay_alu instid0(VALU_DEP_4) | instskip(SKIP_3) | instid1(VALU_DEP_4)
	v_dual_mov_b32 v151, v176 :: v_dual_mov_b32 v160, v164
	v_mov_b32_e32 v164, v170
	v_mov_b32_e32 v170, v182
	v_mad_co_u64_u32 v[182:183], null, s17, v192, v[155:156]
	v_mad_co_u64_u32 v[190:191], null, s17, v194, v[160:161]
	;; [unrolled: 1-line block ×6, first 2 shown]
	v_mov_b32_e32 v153, v180
	v_mad_co_u64_u32 v[194:195], null, s17, v198, v[149:150]
	v_dual_mov_b32 v155, v188 :: v_dual_mov_b32 v164, v190
	v_mov_b32_e32 v162, v183
	v_mov_b32_e32 v160, v182
	v_lshlrev_b64_e32 v[144:145], 4, v[144:145]
	v_add_co_u32 v140, vcc_lo, v211, v140
	v_mov_b32_e32 v172, v194
	v_mad_co_u64_u32 v[173:174], null, s16, v199, 0
	s_wait_alu 0xfffd
	v_add_co_ci_u32_e32 v141, vcc_lo, v212, v141, vcc_lo
	v_add_co_u32 v142, vcc_lo, v211, v142
	s_wait_alu 0xfffd
	v_add_co_ci_u32_e32 v143, vcc_lo, v212, v143, vcc_lo
	s_delay_alu instid0(VALU_DEP_4) | instskip(SKIP_3) | instid1(VALU_DEP_3)
	v_mov_b32_e32 v166, v174
	v_add_co_u32 v144, vcc_lo, v211, v144
	s_wait_alu 0xfffd
	v_add_co_ci_u32_e32 v145, vcc_lo, v212, v145, vcc_lo
	v_mad_co_u64_u32 v[195:196], null, s17, v199, v[166:167]
	v_mad_co_u64_u32 v[196:197], null, s17, v200, v[151:152]
	v_mov_b32_e32 v166, v191
	v_lshlrev_b64_e32 v[158:159], 4, v[159:160]
	v_lshlrev_b64_e32 v[160:161], 4, v[161:162]
	;; [unrolled: 1-line block ×3, first 2 shown]
	v_mov_b32_e32 v174, v195
	v_mad_co_u64_u32 v[177:178], null, s16, v201, 0
	v_mov_b32_e32 v176, v196
	v_lshlrev_b64_e32 v[164:165], 4, v[165:166]
	s_delay_alu instid0(VALU_DEP_3) | instskip(NEXT) | instid1(VALU_DEP_1)
	v_mov_b32_e32 v168, v178
	v_mad_co_u64_u32 v[197:198], null, s17, v201, v[168:169]
	v_mad_co_u64_u32 v[198:199], null, s17, v202, v[153:154]
	;; [unrolled: 1-line block ×3, first 2 shown]
	v_mov_b32_e32 v147, v157
	v_mov_b32_e32 v149, v185
	;; [unrolled: 1-line block ×4, first 2 shown]
	v_dual_mov_b32 v157, v189 :: v_dual_mov_b32 v170, v193
	v_mov_b32_e32 v182, v199
	v_mov_b32_e32 v178, v197
	;; [unrolled: 1-line block ×4, first 2 shown]
	v_lshlrev_b64_e32 v[146:147], 4, v[146:147]
	v_lshlrev_b64_e32 v[148:149], 4, v[148:149]
	;; [unrolled: 1-line block ×6, first 2 shown]
	v_add_co_u32 v146, vcc_lo, v211, v146
	s_wait_alu 0xfffd
	v_add_co_ci_u32_e32 v147, vcc_lo, v212, v147, vcc_lo
	v_add_co_u32 v148, vcc_lo, v211, v148
	s_wait_alu 0xfffd
	v_add_co_ci_u32_e32 v149, vcc_lo, v212, v149, vcc_lo
	;; [unrolled: 3-line block ×7, first 2 shown]
	s_wait_loadcnt 0xd
	v_mul_f64_e32 v[185:186], v[30:31], v[66:67]
	s_wait_dscnt 0x6
	v_mul_f64_e32 v[66:67], v[114:115], v[66:67]
	s_wait_loadcnt 0xc
	v_mul_f64_e32 v[183:184], v[36:37], v[90:91]
	v_mul_f64_e32 v[90:91], v[108:109], v[90:91]
	s_wait_loadcnt 0xb
	v_mul_f64_e32 v[193:194], v[28:29], v[50:51]
	s_wait_loadcnt 0xa
	v_mul_f64_e32 v[191:192], v[22:23], v[62:63]
	s_wait_dscnt 0x4
	v_mul_f64_e32 v[62:63], v[122:123], v[62:63]
	v_mul_f64_e32 v[50:51], v[112:113], v[50:51]
	s_wait_loadcnt 0x9
	v_mul_f64_e32 v[197:198], v[14:15], v[54:55]
	s_wait_loadcnt 0x7
	;; [unrolled: 2-line block ×3, first 2 shown]
	v_mul_f64_e32 v[187:188], v[32:33], v[102:103]
	s_wait_dscnt 0x0
	v_mul_f64_e32 v[102:103], v[136:137], v[102:103]
	v_mul_f64_e32 v[86:87], v[110:111], v[86:87]
	;; [unrolled: 1-line block ×3, first 2 shown]
	s_wait_loadcnt 0x5
	v_mul_f64_e32 v[199:200], v[18:19], v[74:75]
	s_wait_loadcnt 0x4
	v_mul_f64_e32 v[201:202], v[12:13], v[70:71]
	s_wait_loadcnt 0x3
	v_mul_f64_e32 v[203:204], v[16:17], v[82:83]
	s_wait_loadcnt 0x2
	v_mul_f64_e32 v[205:206], v[26:27], v[78:79]
	s_wait_loadcnt 0x1
	v_mul_f64_e32 v[207:208], v[34:35], v[98:99]
	s_wait_loadcnt 0x0
	v_mul_f64_e32 v[209:210], v[24:25], v[94:95]
	v_mul_f64_e32 v[98:99], v[138:139], v[98:99]
	v_mul_f64_e32 v[94:95], v[132:133], v[94:95]
	;; [unrolled: 1-line block ×8, first 2 shown]
	v_fma_f64 v[114:115], v[114:115], v[64:65], -v[185:186]
	v_fma_f64 v[30:31], v[30:31], v[64:65], v[66:67]
	v_fma_f64 v[108:109], v[108:109], v[88:89], -v[183:184]
	v_fma_f64 v[36:37], v[36:37], v[88:89], v[90:91]
	v_lshlrev_b64_e32 v[88:89], 4, v[167:168]
	v_lshlrev_b64_e32 v[90:91], 4, v[169:170]
	v_fma_f64 v[22:23], v[22:23], v[60:61], v[62:63]
	v_lshlrev_b64_e32 v[166:167], 4, v[171:172]
	v_lshlrev_b64_e32 v[168:169], 4, v[173:174]
	;; [unrolled: 1-line block ×6, first 2 shown]
	v_fma_f64 v[66:67], v[110:111], v[84:85], -v[189:190]
	v_fma_f64 v[64:65], v[136:137], v[100:101], -v[187:188]
	v_fma_f64 v[32:33], v[32:33], v[100:101], v[102:103]
	v_fma_f64 v[38:39], v[38:39], v[84:85], v[86:87]
	v_fma_f64 v[86:87], v[112:113], v[48:49], -v[193:194]
	v_fma_f64 v[102:103], v[126:127], v[52:53], -v[197:198]
	;; [unrolled: 1-line block ×7, first 2 shown]
	v_fma_f64 v[34:35], v[34:35], v[96:97], v[98:99]
	v_fma_f64 v[24:25], v[24:25], v[92:93], v[94:95]
	v_fma_f64 v[120:121], v[128:129], v[80:81], -v[203:204]
	v_fma_f64 v[122:123], v[134:135], v[76:77], -v[205:206]
	v_fma_f64 v[16:17], v[16:17], v[80:81], v[82:83]
	v_fma_f64 v[26:27], v[26:27], v[76:77], v[78:79]
	v_fma_f64 v[110:111], v[130:131], v[72:73], -v[199:200]
	v_fma_f64 v[18:19], v[18:19], v[72:73], v[74:75]
	v_fma_f64 v[60:61], v[12:13], v[68:69], v[70:71]
	;; [unrolled: 1-line block ×5, first 2 shown]
	v_add_co_u32 v92, vcc_lo, v211, v160
	v_add_f64_e32 v[14:15], v[108:109], v[114:115]
	v_add_f64_e32 v[48:49], v[36:37], v[30:31]
	;; [unrolled: 1-line block ×3, first 2 shown]
	s_wait_alu 0xfffd
	v_add_co_ci_u32_e32 v93, vcc_lo, v212, v161, vcc_lo
	v_add_co_u32 v94, vcc_lo, v211, v162
	v_add_f64_e64 v[72:73], v[36:37], -v[30:31]
	v_add_f64_e32 v[36:37], v[104:105], v[36:37]
	v_add_f64_e64 v[76:77], v[108:109], -v[114:115]
	s_wait_alu 0xfffd
	v_add_co_ci_u32_e32 v95, vcc_lo, v212, v163, vcc_lo
	v_add_co_u32 v96, vcc_lo, v211, v164
	v_add_f64_e32 v[50:51], v[64:65], v[66:67]
	v_add_f64_e32 v[82:83], v[44:45], v[64:65]
	;; [unrolled: 1-line block ×3, first 2 shown]
	v_add_f64_e64 v[78:79], v[32:33], -v[38:39]
	v_add_f64_e32 v[32:33], v[8:9], v[32:33]
	v_add_f64_e64 v[64:65], v[64:65], -v[66:67]
	v_add_f64_e32 v[54:55], v[84:85], v[86:87]
	v_add_f64_e32 v[56:57], v[100:101], v[102:103]
	;; [unrolled: 1-line block ×6, first 2 shown]
	v_add_f64_e64 v[186:187], v[34:35], -v[24:25]
	v_add_f64_e32 v[62:63], v[120:121], v[122:123]
	v_add_f64_e32 v[180:181], v[4:5], v[16:17]
	;; [unrolled: 1-line block ×7, first 2 shown]
	v_add_f64_e64 v[108:109], v[22:23], -v[12:13]
	v_add_f64_e32 v[128:129], v[20:21], v[28:29]
	v_add_f64_e32 v[22:23], v[2:3], v[22:23]
	v_add_f64_e64 v[134:135], v[20:21], -v[28:29]
	v_add_f64_e32 v[20:21], v[0:1], v[20:21]
	v_fma_f64 v[48:49], v[48:49], -0.5, v[104:105]
	v_add_f64_e64 v[104:105], v[124:125], -v[126:127]
	v_add_f64_e32 v[178:179], v[40:41], v[120:121]
	s_wait_alu 0xfffd
	v_add_co_ci_u32_e32 v97, vcc_lo, v212, v165, vcc_lo
	v_add_f64_e32 v[136:137], v[116:117], v[100:101]
	v_add_f64_e64 v[164:165], v[16:17], -v[26:27]
	v_add_f64_e64 v[120:121], v[120:121], -v[122:123]
	v_add_f64_e32 v[160:161], v[42:43], v[110:111]
	v_add_f64_e64 v[138:139], v[18:19], -v[60:61]
	v_fma_f64 v[106:107], v[14:15], -0.5, v[106:107]
	v_add_f64_e64 v[110:111], v[110:111], -v[112:113]
	v_add_f64_e64 v[100:101], v[100:101], -v[102:103]
	v_fma_f64 v[44:45], v[50:51], -0.5, v[44:45]
	v_add_f64_e32 v[130:131], v[118:119], v[84:85]
	v_fma_f64 v[50:51], v[52:53], -0.5, v[8:9]
	v_add_f64_e64 v[84:85], v[84:85], -v[86:87]
	v_add_f64_e32 v[8:9], v[32:33], v[38:39]
	v_add_co_u32 v88, vcc_lo, v211, v88
	v_fma_f64 v[116:117], v[56:57], -0.5, v[116:117]
	v_fma_f64 v[118:119], v[54:55], -0.5, v[118:119]
	v_fma_f64 v[68:69], v[68:69], -0.5, v[46:47]
	v_add_f64_e32 v[24:25], v[184:185], v[24:25]
	v_fma_f64 v[70:71], v[70:71], -0.5, v[10:11]
	v_add_f64_e32 v[10:11], v[82:83], v[66:67]
	v_fma_f64 v[56:57], v[62:63], -0.5, v[40:41]
	s_wait_alu 0xfffd
	v_add_co_ci_u32_e32 v89, vcc_lo, v212, v89, vcc_lo
	v_fma_f64 v[80:81], v[80:81], -0.5, v[4:5]
	v_fma_f64 v[52:53], v[58:59], -0.5, v[42:43]
	;; [unrolled: 1-line block ×3, first 2 shown]
	v_add_f64_e32 v[6:7], v[74:75], v[114:115]
	v_add_f64_e32 v[4:5], v[36:37], v[30:31]
	v_fma_f64 v[114:115], v[128:129], -0.5, v[0:1]
	v_fma_f64 v[128:129], v[132:133], -0.5, v[2:3]
	v_add_f64_e32 v[0:1], v[22:23], v[12:13]
	v_add_f64_e32 v[12:13], v[20:21], v[28:29]
	v_add_f64_e32 v[20:21], v[180:181], v[26:27]
	v_add_f64_e32 v[26:27], v[182:183], v[126:127]
	v_add_f64_e32 v[16:17], v[162:163], v[60:61]
	v_add_f64_e32 v[22:23], v[178:179], v[122:123]
	s_wait_alu 0xfffe
	v_fma_f64 v[28:29], v[76:77], s[2:3], v[48:49]
	v_add_f64_e32 v[14:15], v[136:137], v[102:103]
	v_fma_f64 v[32:33], v[76:77], s[0:1], v[48:49]
	v_add_co_u32 v90, vcc_lo, v211, v90
	v_add_f64_e32 v[18:19], v[160:161], v[112:113]
	v_fma_f64 v[30:31], v[72:73], s[0:1], v[106:107]
	v_fma_f64 v[34:35], v[72:73], s[2:3], v[106:107]
	s_wait_alu 0xfffd
	v_add_co_ci_u32_e32 v91, vcc_lo, v212, v91, vcc_lo
	v_fma_f64 v[42:43], v[78:79], s[2:3], v[44:45]
	v_fma_f64 v[40:41], v[64:65], s[0:1], v[50:51]
	;; [unrolled: 1-line block ×4, first 2 shown]
	v_add_f64_e32 v[2:3], v[130:131], v[86:87]
	v_add_co_u32 v124, vcc_lo, v211, v166
	v_fma_f64 v[78:79], v[134:135], s[2:3], v[116:117]
	v_fma_f64 v[66:67], v[186:187], s[2:3], v[68:69]
	;; [unrolled: 1-line block ×20, first 2 shown]
	s_wait_alu 0xfffd
	v_add_co_ci_u32_e32 v125, vcc_lo, v212, v167, vcc_lo
	v_add_co_u32 v84, vcc_lo, v211, v168
	s_wait_alu 0xfffd
	v_add_co_ci_u32_e32 v85, vcc_lo, v212, v169, vcc_lo
	v_add_co_u32 v86, vcc_lo, v211, v170
	;; [unrolled: 3-line block ×5, first 2 shown]
	s_wait_alu 0xfffd
	v_add_co_ci_u32_e32 v103, vcc_lo, v212, v177, vcc_lo
	s_clause 0x14
	global_store_b128 v[140:141], v[8:11], off
	global_store_b128 v[142:143], v[40:43], off
	;; [unrolled: 1-line block ×21, first 2 shown]
.LBB0_29:
	s_nop 0
	s_sendmsg sendmsg(MSG_DEALLOC_VGPRS)
	s_endpgm
	.section	.rodata,"a",@progbits
	.p2align	6, 0x0
	.amdhsa_kernel fft_rtc_back_len1155_factors_11_5_7_3_wgs_55_tpt_55_halfLds_dp_op_CI_CI_sbrr_dirReg
		.amdhsa_group_segment_fixed_size 0
		.amdhsa_private_segment_fixed_size 0
		.amdhsa_kernarg_size 104
		.amdhsa_user_sgpr_count 2
		.amdhsa_user_sgpr_dispatch_ptr 0
		.amdhsa_user_sgpr_queue_ptr 0
		.amdhsa_user_sgpr_kernarg_segment_ptr 1
		.amdhsa_user_sgpr_dispatch_id 0
		.amdhsa_user_sgpr_private_segment_size 0
		.amdhsa_wavefront_size32 1
		.amdhsa_uses_dynamic_stack 0
		.amdhsa_enable_private_segment 0
		.amdhsa_system_sgpr_workgroup_id_x 1
		.amdhsa_system_sgpr_workgroup_id_y 0
		.amdhsa_system_sgpr_workgroup_id_z 0
		.amdhsa_system_sgpr_workgroup_info 0
		.amdhsa_system_vgpr_workitem_id 0
		.amdhsa_next_free_vgpr 240
		.amdhsa_next_free_sgpr 43
		.amdhsa_reserve_vcc 1
		.amdhsa_float_round_mode_32 0
		.amdhsa_float_round_mode_16_64 0
		.amdhsa_float_denorm_mode_32 3
		.amdhsa_float_denorm_mode_16_64 3
		.amdhsa_fp16_overflow 0
		.amdhsa_workgroup_processor_mode 1
		.amdhsa_memory_ordered 1
		.amdhsa_forward_progress 0
		.amdhsa_round_robin_scheduling 0
		.amdhsa_exception_fp_ieee_invalid_op 0
		.amdhsa_exception_fp_denorm_src 0
		.amdhsa_exception_fp_ieee_div_zero 0
		.amdhsa_exception_fp_ieee_overflow 0
		.amdhsa_exception_fp_ieee_underflow 0
		.amdhsa_exception_fp_ieee_inexact 0
		.amdhsa_exception_int_div_zero 0
	.end_amdhsa_kernel
	.text
.Lfunc_end0:
	.size	fft_rtc_back_len1155_factors_11_5_7_3_wgs_55_tpt_55_halfLds_dp_op_CI_CI_sbrr_dirReg, .Lfunc_end0-fft_rtc_back_len1155_factors_11_5_7_3_wgs_55_tpt_55_halfLds_dp_op_CI_CI_sbrr_dirReg
                                        ; -- End function
	.section	.AMDGPU.csdata,"",@progbits
; Kernel info:
; codeLenInByte = 17816
; NumSgprs: 45
; NumVgprs: 240
; ScratchSize: 0
; MemoryBound: 1
; FloatMode: 240
; IeeeMode: 1
; LDSByteSize: 0 bytes/workgroup (compile time only)
; SGPRBlocks: 5
; VGPRBlocks: 29
; NumSGPRsForWavesPerEU: 45
; NumVGPRsForWavesPerEU: 240
; Occupancy: 6
; WaveLimiterHint : 1
; COMPUTE_PGM_RSRC2:SCRATCH_EN: 0
; COMPUTE_PGM_RSRC2:USER_SGPR: 2
; COMPUTE_PGM_RSRC2:TRAP_HANDLER: 0
; COMPUTE_PGM_RSRC2:TGID_X_EN: 1
; COMPUTE_PGM_RSRC2:TGID_Y_EN: 0
; COMPUTE_PGM_RSRC2:TGID_Z_EN: 0
; COMPUTE_PGM_RSRC2:TIDIG_COMP_CNT: 0
	.text
	.p2alignl 7, 3214868480
	.fill 96, 4, 3214868480
	.type	__hip_cuid_5f275c324fc9e09d,@object ; @__hip_cuid_5f275c324fc9e09d
	.section	.bss,"aw",@nobits
	.globl	__hip_cuid_5f275c324fc9e09d
__hip_cuid_5f275c324fc9e09d:
	.byte	0                               ; 0x0
	.size	__hip_cuid_5f275c324fc9e09d, 1

	.ident	"AMD clang version 19.0.0git (https://github.com/RadeonOpenCompute/llvm-project roc-6.4.0 25133 c7fe45cf4b819c5991fe208aaa96edf142730f1d)"
	.section	".note.GNU-stack","",@progbits
	.addrsig
	.addrsig_sym __hip_cuid_5f275c324fc9e09d
	.amdgpu_metadata
---
amdhsa.kernels:
  - .args:
      - .actual_access:  read_only
        .address_space:  global
        .offset:         0
        .size:           8
        .value_kind:     global_buffer
      - .offset:         8
        .size:           8
        .value_kind:     by_value
      - .actual_access:  read_only
        .address_space:  global
        .offset:         16
        .size:           8
        .value_kind:     global_buffer
      - .actual_access:  read_only
        .address_space:  global
        .offset:         24
        .size:           8
        .value_kind:     global_buffer
      - .actual_access:  read_only
        .address_space:  global
        .offset:         32
        .size:           8
        .value_kind:     global_buffer
      - .offset:         40
        .size:           8
        .value_kind:     by_value
      - .actual_access:  read_only
        .address_space:  global
        .offset:         48
        .size:           8
        .value_kind:     global_buffer
      - .actual_access:  read_only
        .address_space:  global
        .offset:         56
        .size:           8
        .value_kind:     global_buffer
      - .offset:         64
        .size:           4
        .value_kind:     by_value
      - .actual_access:  read_only
        .address_space:  global
        .offset:         72
        .size:           8
        .value_kind:     global_buffer
      - .actual_access:  read_only
        .address_space:  global
        .offset:         80
        .size:           8
        .value_kind:     global_buffer
      - .actual_access:  read_only
        .address_space:  global
        .offset:         88
        .size:           8
        .value_kind:     global_buffer
      - .actual_access:  write_only
        .address_space:  global
        .offset:         96
        .size:           8
        .value_kind:     global_buffer
    .group_segment_fixed_size: 0
    .kernarg_segment_align: 8
    .kernarg_segment_size: 104
    .language:       OpenCL C
    .language_version:
      - 2
      - 0
    .max_flat_workgroup_size: 55
    .name:           fft_rtc_back_len1155_factors_11_5_7_3_wgs_55_tpt_55_halfLds_dp_op_CI_CI_sbrr_dirReg
    .private_segment_fixed_size: 0
    .sgpr_count:     45
    .sgpr_spill_count: 0
    .symbol:         fft_rtc_back_len1155_factors_11_5_7_3_wgs_55_tpt_55_halfLds_dp_op_CI_CI_sbrr_dirReg.kd
    .uniform_work_group_size: 1
    .uses_dynamic_stack: false
    .vgpr_count:     240
    .vgpr_spill_count: 0
    .wavefront_size: 32
    .workgroup_processor_mode: 1
amdhsa.target:   amdgcn-amd-amdhsa--gfx1201
amdhsa.version:
  - 1
  - 2
...

	.end_amdgpu_metadata
